;; amdgpu-corpus repo=ROCm/rocFFT kind=compiled arch=gfx906 opt=O3
	.text
	.amdgcn_target "amdgcn-amd-amdhsa--gfx906"
	.amdhsa_code_object_version 6
	.protected	bluestein_single_back_len1092_dim1_sp_op_CI_CI ; -- Begin function bluestein_single_back_len1092_dim1_sp_op_CI_CI
	.globl	bluestein_single_back_len1092_dim1_sp_op_CI_CI
	.p2align	8
	.type	bluestein_single_back_len1092_dim1_sp_op_CI_CI,@function
bluestein_single_back_len1092_dim1_sp_op_CI_CI: ; @bluestein_single_back_len1092_dim1_sp_op_CI_CI
; %bb.0:
	s_load_dwordx4 s[12:15], s[4:5], 0x28
	s_mov_b64 s[26:27], s[2:3]
	v_mul_u32_u24_e32 v1, 0x4ed, v0
	s_mov_b64 s[24:25], s[0:1]
	v_add_u32_sdwa v225, s6, v1 dst_sel:DWORD dst_unused:UNUSED_PAD src0_sel:DWORD src1_sel:WORD_1
	v_mov_b32_e32 v226, 0
	s_add_u32 s24, s24, s7
	s_waitcnt lgkmcnt(0)
	v_cmp_gt_u64_e32 vcc, s[12:13], v[225:226]
	s_addc_u32 s25, s25, 0
	s_and_saveexec_b64 s[0:1], vcc
	s_cbranch_execz .LBB0_31
; %bb.1:
	s_load_dwordx4 s[0:3], s[4:5], 0x18
	s_load_dwordx2 s[16:17], s[4:5], 0x0
	v_mov_b32_e32 v2, 52
	v_mul_lo_u16_sdwa v1, v1, v2 dst_sel:DWORD dst_unused:UNUSED_PAD src0_sel:WORD_1 src1_sel:DWORD
	v_sub_u16_e32 v176, v0, v1
	s_waitcnt lgkmcnt(0)
	s_load_dwordx4 s[8:11], s[0:1], 0x0
	v_lshlrev_b32_e32 v175, 3, v176
	v_add_co_u32_e64 v173, s[6:7], s16, v175
	global_load_dwordx2 v[167:168], v175, s[16:17]
	s_waitcnt lgkmcnt(0)
	v_mad_u64_u32 v[0:1], s[0:1], s10, v225, 0
	v_mad_u64_u32 v[2:3], s[0:1], s8, v176, 0
	;; [unrolled: 1-line block ×4, first 2 shown]
	v_mov_b32_e32 v1, v4
	v_lshlrev_b64 v[0:1], 3, v[0:1]
	v_mov_b32_e32 v6, s15
	v_mov_b32_e32 v3, v5
	v_add_co_u32_e32 v4, vcc, s14, v0
	v_addc_co_u32_e32 v5, vcc, v6, v1, vcc
	v_lshlrev_b64 v[0:1], 3, v[2:3]
	s_mul_i32 s0, s9, 0x222
	s_mul_hi_u32 s1, s8, 0x222
	v_add_co_u32_e32 v0, vcc, v4, v0
	v_mov_b32_e32 v2, s17
	s_add_i32 s1, s1, s0
	s_mul_i32 s0, s8, 0x222
	v_addc_co_u32_e32 v1, vcc, v5, v1, vcc
	v_addc_co_u32_e64 v224, vcc, 0, v2, s[6:7]
	s_lshl_b64 s[14:15], s[0:1], 3
	v_mov_b32_e32 v42, s15
	v_add_co_u32_e32 v2, vcc, s14, v0
	v_addc_co_u32_e32 v3, vcc, v1, v42, vcc
	s_movk_i32 s0, 0x1000
	v_add_co_u32_e32 v8, vcc, s0, v173
	v_addc_co_u32_e32 v9, vcc, 0, v224, vcc
	global_load_dwordx2 v[4:5], v[0:1], off
	global_load_dwordx2 v[6:7], v[2:3], off
	global_load_dwordx2 v[165:166], v[8:9], off offset:272
	s_mul_hi_u32 s1, s8, 0xfffffe12
	s_mul_i32 s0, s9, 0xfffffe12
	s_sub_i32 s1, s1, s8
	s_add_i32 s1, s1, s0
	s_mul_i32 s0, s8, 0xfffffe12
	s_lshl_b64 s[18:19], s[0:1], 3
	v_mov_b32_e32 v40, s19
	v_add_co_u32_e32 v0, vcc, s18, v2
	v_addc_co_u32_e32 v1, vcc, v3, v40, vcc
	global_load_dwordx2 v[2:3], v[0:1], off
	global_load_dwordx2 v[163:164], v175, s[16:17] offset:416
	v_add_co_u32_e32 v0, vcc, s14, v0
	v_addc_co_u32_e32 v1, vcc, v1, v42, vcc
	v_add_co_u32_e32 v10, vcc, s18, v0
	v_addc_co_u32_e32 v11, vcc, v1, v40, vcc
	s_load_dwordx2 s[12:13], s[4:5], 0x38
	s_load_dwordx4 s[8:11], s[2:3], 0x0
	global_load_dwordx2 v[158:159], v175, s[16:17] offset:832
	global_load_dwordx2 v[152:153], v175, s[16:17] offset:1248
	global_load_dwordx2 v[169:170], v[8:9], off offset:688
	global_load_dwordx2 v[160:161], v[8:9], off offset:1104
	;; [unrolled: 1-line block ×3, first 2 shown]
	global_load_dwordx2 v[12:13], v[0:1], off
	global_load_dwordx2 v[14:15], v[10:11], off
	v_add_co_u32_e32 v0, vcc, s14, v10
	v_addc_co_u32_e32 v1, vcc, v11, v42, vcc
	global_load_dwordx2 v[10:11], v[0:1], off
	v_add_co_u32_e32 v0, vcc, s18, v0
	v_addc_co_u32_e32 v1, vcc, v1, v40, vcc
	;; [unrolled: 3-line block ×3, first 2 shown]
	v_cmp_gt_u16_e64 s[0:1], 26, v176
	s_waitcnt vmcnt(13)
	v_mul_f32_e32 v18, v5, v168
	v_mul_f32_e32 v19, v4, v168
	v_fmac_f32_e32 v18, v4, v167
	v_fma_f32 v19, v5, v167, -v19
	s_waitcnt vmcnt(11)
	v_mul_f32_e32 v4, v7, v166
	v_mul_f32_e32 v5, v6, v166
	v_fmac_f32_e32 v4, v6, v165
	v_fma_f32 v5, v7, v165, -v5
	ds_write_b64 v175, v[4:5] offset:4368
	global_load_dwordx2 v[4:5], v[0:1], off
	v_add_co_u32_e32 v0, vcc, s18, v0
	v_addc_co_u32_e32 v1, vcc, v1, v40, vcc
	global_load_dwordx2 v[20:21], v[0:1], off
	global_load_dwordx2 v[154:155], v175, s[16:17] offset:1664
	v_add_co_u32_e32 v0, vcc, s14, v0
	v_addc_co_u32_e32 v1, vcc, v1, v42, vcc
	global_load_dwordx2 v[22:23], v[0:1], off
	global_load_dwordx2 v[146:147], v[8:9], off offset:1936
	v_add_co_u32_e32 v0, vcc, s18, v0
	v_addc_co_u32_e32 v1, vcc, v1, v40, vcc
	global_load_dwordx2 v[24:25], v[0:1], off
	v_add_co_u32_e32 v0, vcc, s14, v0
	v_addc_co_u32_e32 v1, vcc, v1, v42, vcc
	global_load_dwordx2 v[26:27], v[0:1], off
	;; [unrolled: 3-line block ×3, first 2 shown]
	global_load_dwordx2 v[156:157], v175, s[16:17] offset:2080
	global_load_dwordx2 v[144:145], v175, s[16:17] offset:2496
	v_add_co_u32_e32 v0, vcc, s14, v0
	v_addc_co_u32_e32 v1, vcc, v1, v42, vcc
	global_load_dwordx2 v[150:151], v[8:9], off offset:2352
	global_load_dwordx2 v[30:31], v[0:1], off
	global_load_dwordx2 v[142:143], v[8:9], off offset:2768
	v_add_co_u32_e32 v0, vcc, s18, v0
	v_addc_co_u32_e32 v1, vcc, v1, v40, vcc
	global_load_dwordx2 v[32:33], v[0:1], off
	global_load_dwordx2 v[140:141], v175, s[16:17] offset:2912
	v_add_co_u32_e32 v0, vcc, s14, v0
	v_addc_co_u32_e32 v1, vcc, v1, v42, vcc
	global_load_dwordx2 v[34:35], v[0:1], off
	global_load_dwordx2 v[138:139], v[8:9], off offset:3184
	v_add_co_u32_e32 v0, vcc, s18, v0
	v_addc_co_u32_e32 v1, vcc, v1, v40, vcc
	global_load_dwordx2 v[36:37], v[0:1], off
	global_load_dwordx2 v[136:137], v175, s[16:17] offset:3328
	v_add_co_u32_e32 v0, vcc, s14, v0
	v_addc_co_u32_e32 v1, vcc, v1, v42, vcc
	;; [unrolled: 8-line block ×3, first 2 shown]
	global_load_dwordx2 v[42:43], v[0:1], off
	global_load_dwordx2 v[130:131], v[8:9], off offset:4016
	s_waitcnt vmcnt(34)
	v_mul_f32_e32 v6, v3, v164
	v_fmac_f32_e32 v6, v2, v163
	v_mul_f32_e32 v2, v2, v164
	v_fma_f32 v7, v3, v163, -v2
	s_waitcnt vmcnt(28)
	v_mul_f32_e32 v2, v12, v170
	ds_write2_b64 v175, v[18:19], v[6:7] offset1:52
	v_mul_f32_e32 v6, v13, v170
	v_fma_f32 v7, v13, v169, -v2
	s_waitcnt vmcnt(27)
	v_mul_f32_e32 v2, v14, v159
	v_fmac_f32_e32 v6, v12, v169
	v_fma_f32 v9, v15, v158, -v2
	s_waitcnt vmcnt(26)
	v_mul_f32_e32 v12, v11, v161
	v_mul_f32_e32 v2, v10, v161
	v_fmac_f32_e32 v12, v10, v160
	v_fma_f32 v13, v11, v160, -v2
	v_add_u32_e32 v2, 0x1000, v175
	v_mul_f32_e32 v8, v15, v159
	ds_write2_b64 v2, v[6:7], v[12:13] offset0:86 offset1:138
	s_waitcnt vmcnt(25)
	v_mul_f32_e32 v6, v17, v153
	v_mul_f32_e32 v3, v16, v153
	v_fmac_f32_e32 v8, v14, v158
	v_fmac_f32_e32 v6, v16, v152
	v_fma_f32 v7, v17, v152, -v3
	s_waitcnt vmcnt(24)
	v_mul_f32_e32 v3, v5, v149
	ds_write2_b64 v175, v[8:9], v[6:7] offset0:104 offset1:156
	v_fmac_f32_e32 v3, v4, v148
	v_mul_f32_e32 v4, v4, v149
	v_fma_f32 v4, v5, v148, -v4
	s_waitcnt vmcnt(22)
	v_mul_f32_e32 v5, v21, v155
	s_waitcnt vmcnt(20)
	v_mul_f32_e32 v7, v23, v147
	v_mul_f32_e32 v8, v22, v147
	v_fmac_f32_e32 v7, v22, v146
	v_fma_f32 v8, v23, v146, -v8
	v_mul_f32_e32 v6, v20, v155
	ds_write2_b64 v2, v[3:4], v[7:8] offset0:190 offset1:242
	v_fmac_f32_e32 v5, v20, v154
	v_fma_f32 v6, v21, v154, -v6
	v_add_u32_e32 v16, 0x1800, v175
	v_add_u32_e32 v17, 0x800, v175
	s_waitcnt vmcnt(16)
	v_mul_f32_e32 v7, v25, v157
	v_mul_f32_e32 v3, v24, v157
	v_fmac_f32_e32 v7, v24, v156
	v_fma_f32 v8, v25, v156, -v3
	v_add_u32_e32 v3, 0x400, v175
	ds_write2_b64 v3, v[5:6], v[7:8] offset0:80 offset1:132
	s_waitcnt vmcnt(14)
	v_mul_f32_e32 v4, v27, v151
	v_mul_f32_e32 v5, v26, v151
	s_waitcnt vmcnt(12)
	v_mul_f32_e32 v8, v31, v143
	v_mul_f32_e32 v9, v30, v143
	v_fmac_f32_e32 v4, v26, v150
	v_fma_f32 v5, v27, v150, -v5
	v_fmac_f32_e32 v8, v30, v142
	v_fma_f32 v9, v31, v142, -v9
	v_mul_f32_e32 v6, v29, v145
	v_mul_f32_e32 v7, v28, v145
	ds_write2_b64 v16, v[4:5], v[8:9] offset0:38 offset1:90
	s_waitcnt vmcnt(10)
	v_mul_f32_e32 v4, v33, v141
	v_mul_f32_e32 v5, v32, v141
	v_fmac_f32_e32 v6, v28, v144
	v_fma_f32 v7, v29, v144, -v7
	v_fmac_f32_e32 v4, v32, v140
	v_fma_f32 v5, v33, v140, -v5
	ds_write2_b64 v17, v[6:7], v[4:5] offset0:56 offset1:108
	s_waitcnt vmcnt(8)
	v_mul_f32_e32 v4, v35, v139
	v_mul_f32_e32 v5, v34, v139
	s_waitcnt vmcnt(4)
	v_mul_f32_e32 v8, v39, v135
	v_mul_f32_e32 v9, v38, v135
	v_fmac_f32_e32 v4, v34, v138
	v_fma_f32 v5, v35, v138, -v5
	v_fmac_f32_e32 v8, v38, v134
	v_fma_f32 v9, v39, v134, -v9
	v_mul_f32_e32 v6, v37, v137
	v_mul_f32_e32 v7, v36, v137
	ds_write2_b64 v16, v[4:5], v[8:9] offset0:142 offset1:194
	s_waitcnt vmcnt(2)
	v_mul_f32_e32 v4, v41, v133
	v_mul_f32_e32 v5, v40, v133
	v_fmac_f32_e32 v6, v36, v136
	v_fma_f32 v7, v37, v136, -v7
	v_fmac_f32_e32 v4, v40, v132
	v_fma_f32 v5, v41, v132, -v5
	ds_write2_b64 v17, v[6:7], v[4:5] offset0:160 offset1:212
	s_waitcnt vmcnt(0)
	v_mul_f32_e32 v4, v43, v131
	v_mul_f32_e32 v5, v42, v131
	v_fmac_f32_e32 v4, v42, v130
	v_fma_f32 v5, v43, v130, -v5
	ds_write_b64 v175, v[4:5] offset:8112
	s_and_saveexec_b64 s[2:3], s[0:1]
	s_cbranch_execz .LBB0_3
; %bb.2:
	v_mov_b32_e32 v4, s19
	v_add_co_u32_e32 v0, vcc, s18, v0
	v_addc_co_u32_e32 v1, vcc, v1, v4, vcc
	v_add_co_u32_e32 v6, vcc, 0x1000, v173
	v_addc_co_u32_e32 v7, vcc, 0, v224, vcc
	global_load_dwordx2 v[4:5], v[0:1], off
	v_mov_b32_e32 v8, s15
	v_add_co_u32_e32 v0, vcc, s14, v0
	v_addc_co_u32_e32 v1, vcc, v1, v8, vcc
	v_add_co_u32_e32 v8, vcc, 0x2000, v173
	global_load_dwordx2 v[6:7], v[6:7], off offset:64
	v_addc_co_u32_e32 v9, vcc, 0, v224, vcc
	global_load_dwordx2 v[8:9], v[8:9], off offset:336
	s_waitcnt vmcnt(1)
	v_mul_f32_e32 v10, v5, v7
	global_load_dwordx2 v[0:1], v[0:1], off
	v_mul_f32_e32 v7, v4, v7
	v_fmac_f32_e32 v10, v4, v6
	v_fma_f32 v11, v5, v6, -v7
	ds_write_b64 v175, v[10:11] offset:4160
	s_waitcnt vmcnt(0)
	v_mul_f32_e32 v4, v1, v9
	v_mul_f32_e32 v5, v0, v9
	v_fmac_f32_e32 v4, v0, v8
	v_fma_f32 v5, v1, v8, -v5
	ds_write_b64 v175, v[4:5] offset:8528
.LBB0_3:
	s_or_b64 exec, exec, s[2:3]
	v_add_u32_e32 v0, 0x1400, v175
	s_waitcnt lgkmcnt(0)
	; wave barrier
	s_waitcnt lgkmcnt(0)
	ds_read2_b64 v[20:23], v175 offset1:52
	ds_read2_b64 v[36:39], v2 offset0:34 offset1:86
	ds_read2_b64 v[12:15], v175 offset0:104 offset1:156
	ds_read2_b64 v[32:35], v2 offset0:138 offset1:190
	ds_read2_b64 v[8:11], v3 offset0:80 offset1:132
	ds_read2_b64 v[28:31], v0 offset0:114 offset1:166
	ds_read2_b64 v[4:7], v17 offset0:56 offset1:108
	ds_read2_b64 v[24:27], v16 offset0:90 offset1:142
	ds_read2_b64 v[0:3], v17 offset0:160 offset1:212
	ds_read2_b64 v[16:19], v16 offset0:194 offset1:246
                                        ; implicit-def: $vgpr42
                                        ; implicit-def: $vgpr40
	s_and_saveexec_b64 s[2:3], s[0:1]
	s_cbranch_execz .LBB0_5
; %bb.4:
	ds_read_b64 v[40:41], v175 offset:4160
	ds_read_b64 v[42:43], v175 offset:8528
.LBB0_5:
	s_or_b64 exec, exec, s[2:3]
	s_movk_i32 s2, 0xd0
	s_load_dwordx2 s[4:5], s[4:5], 0x8
	v_add_co_u32_e32 v44, vcc, s2, v176
	s_movk_i32 s2, 0x104
	v_add_co_u32_e32 v45, vcc, s2, v176
	s_movk_i32 s2, 0x138
	;; [unrolled: 2-line block ×3, first 2 shown]
	s_waitcnt lgkmcnt(0)
	v_sub_f32_e32 v50, v20, v36
	v_sub_f32_e32 v51, v21, v37
	;; [unrolled: 1-line block ×12, first 2 shown]
	v_add_co_u32_e32 v89, vcc, 52, v176
	v_add_co_u32_e32 v244, vcc, 0x68, v176
	v_lshlrev_b32_e32 v47, 1, v176
	v_add_co_u32_e32 v46, vcc, s2, v176
	v_fma_f32 v48, v20, 2.0, -v50
	v_fma_f32 v49, v21, 2.0, -v51
	v_fma_f32 v36, v22, 2.0, -v38
	v_fma_f32 v37, v23, 2.0, -v39
	v_sub_f32_e32 v22, v12, v32
	v_sub_f32_e32 v23, v13, v33
	v_fma_f32 v32, v14, 2.0, -v34
	v_fma_f32 v33, v15, 2.0, -v35
	v_sub_f32_e32 v14, v8, v28
	v_sub_f32_e32 v15, v9, v29
	v_fma_f32 v28, v10, 2.0, -v30
	v_fma_f32 v29, v11, 2.0, -v31
	;; [unrolled: 4-line block ×4, first 2 shown]
	v_sub_f32_e32 v2, v40, v42
	v_sub_f32_e32 v3, v41, v43
	v_lshlrev_b32_e32 v193, 4, v176
	v_fma_f32 v20, v12, 2.0, -v22
	v_fma_f32 v21, v13, 2.0, -v23
	;; [unrolled: 1-line block ×10, first 2 shown]
	s_waitcnt lgkmcnt(0)
	; wave barrier
	ds_write_b128 v193, v[48:51]
	v_lshlrev_b32_e32 v177, 1, v89
	v_lshlrev_b32_e32 v194, 4, v89
	;; [unrolled: 1-line block ×4, first 2 shown]
	v_add_u32_e32 v174, 0x138, v47
	v_lshlrev_b32_e32 v179, 3, v47
	v_lshlrev_b32_e32 v50, 1, v44
	;; [unrolled: 1-line block ×7, first 2 shown]
	v_add_u32_e32 v196, 0x2d8, v47
	v_add_u32_e32 v197, 0x340, v47
	v_add_u32_e32 v242, 0x3a8, v47
	v_lshlrev_b32_e32 v228, 4, v46
	ds_write_b128 v194, v[36:39]
	ds_write_b128 v195, v[20:23]
	ds_write_b128 v179, v[32:35] offset:2496
	ds_write_b128 v198, v[12:15]
	ds_write_b128 v227, v[28:31]
	;; [unrolled: 1-line block ×3, first 2 shown]
	ds_write_b128 v179, v[24:27] offset:5824
	ds_write_b128 v179, v[4:7] offset:6656
	;; [unrolled: 1-line block ×3, first 2 shown]
	s_and_saveexec_b64 s[2:3], s[0:1]
	s_cbranch_execz .LBB0_7
; %bb.6:
	ds_write_b128 v228, v[0:3]
.LBB0_7:
	s_or_b64 exec, exec, s[2:3]
	v_add_u32_e32 v4, 0x1000, v175
	s_waitcnt lgkmcnt(0)
	; wave barrier
	s_waitcnt lgkmcnt(0)
	ds_read2_b64 v[20:23], v175 offset1:52
	ds_read2_b64 v[40:43], v4 offset0:34 offset1:86
	ds_read2_b64 v[16:19], v175 offset0:104 offset1:156
	;; [unrolled: 1-line block ×3, first 2 shown]
	v_add_u32_e32 v4, 0x400, v175
	ds_read2_b64 v[12:15], v4 offset0:80 offset1:132
	v_add_u32_e32 v4, 0x1400, v175
	ds_read2_b64 v[32:35], v4 offset0:114 offset1:166
	v_add_u32_e32 v4, 0x800, v175
	v_add_u32_e32 v24, 0x1800, v175
	ds_read2_b64 v[8:11], v4 offset0:56 offset1:108
	ds_read2_b64 v[28:31], v24 offset0:90 offset1:142
	;; [unrolled: 1-line block ×4, first 2 shown]
	s_and_saveexec_b64 s[2:3], s[0:1]
	s_cbranch_execz .LBB0_9
; %bb.8:
	ds_read_b64 v[0:1], v175 offset:4160
	ds_read_b64 v[2:3], v175 offset:8528
.LBB0_9:
	s_or_b64 exec, exec, s[2:3]
	v_and_b32_e32 v178, 1, v176
	v_lshlrev_b32_e32 v44, 3, v178
	global_load_dwordx2 v[80:81], v44, s[4:5]
	s_movk_i32 s2, 0x7c
	s_movk_i32 s3, 0x2fc
	v_lshlrev_b32_e32 v240, 1, v46
	s_waitcnt lgkmcnt(0)
	; wave barrier
	s_waitcnt vmcnt(0) lgkmcnt(0)
	v_mul_f32_e32 v44, v41, v81
	v_fma_f32 v44, v40, v80, -v44
	v_mul_f32_e32 v40, v40, v81
	v_fmac_f32_e32 v40, v41, v80
	v_mul_f32_e32 v41, v43, v81
	v_fma_f32 v41, v42, v80, -v41
	v_mul_f32_e32 v42, v42, v81
	v_fmac_f32_e32 v42, v43, v80
	;; [unrolled: 4-line block ×6, first 2 shown]
	v_mul_f32_e32 v35, v29, v81
	v_fma_f32 v35, v28, v80, -v35
	v_mul_f32_e32 v45, v28, v81
	v_mul_f32_e32 v28, v31, v81
	v_fma_f32 v57, v30, v80, -v28
	v_mul_f32_e32 v28, v25, v81
	v_fma_f32 v59, v24, v80, -v28
	v_mul_f32_e32 v60, v24, v81
	v_mul_f32_e32 v24, v27, v81
	v_fma_f32 v61, v26, v80, -v24
	v_mul_f32_e32 v24, v3, v81
	v_fma_f32 v63, v2, v80, -v24
	v_mul_f32_e32 v64, v2, v81
	v_sub_f32_e32 v2, v20, v44
	v_sub_f32_e32 v44, v0, v63
	v_fmac_f32_e32 v45, v29, v80
	v_sub_f32_e32 v29, v23, v42
	v_fma_f32 v42, v0, 2.0, -v44
	v_and_or_b32 v0, v47, s2, v178
	s_movk_i32 s2, 0xfc
	v_lshlrev_b32_e32 v231, 3, v0
	v_and_or_b32 v0, v177, s2, v178
	s_movk_i32 s2, 0x1fc
	v_lshlrev_b32_e32 v232, 3, v0
	v_and_or_b32 v0, v87, s2, v178
	v_lshlrev_b32_e32 v234, 3, v0
	v_and_or_b32 v0, v174, s2, v178
	s_movk_i32 s2, 0x3fc
	v_lshlrev_b32_e32 v233, 3, v0
	v_and_or_b32 v0, v50, s2, v178
	v_lshlrev_b32_e32 v235, 3, v0
	v_and_or_b32 v0, v48, s3, v178
	;; [unrolled: 2-line block ×3, first 2 shown]
	v_mul_f32_e32 v58, v30, v81
	v_mul_f32_e32 v62, v26, v81
	v_lshlrev_b32_e32 v237, 3, v0
	v_and_or_b32 v0, v196, s2, v178
	v_fmac_f32_e32 v58, v31, v80
	v_fmac_f32_e32 v60, v25, v80
	;; [unrolled: 1-line block ×4, first 2 shown]
	v_lshlrev_b32_e32 v238, 3, v0
	v_and_or_b32 v0, v197, s2, v178
	s_movk_i32 s2, 0x7fc
	v_sub_f32_e32 v3, v21, v40
	v_sub_f32_e32 v28, v22, v41
	v_sub_f32_e32 v30, v16, v43
	v_sub_f32_e32 v31, v17, v36
	v_sub_f32_e32 v51, v18, v37
	v_sub_f32_e32 v52, v19, v38
	v_sub_f32_e32 v53, v12, v39
	v_sub_f32_e32 v54, v13, v32
	v_sub_f32_e32 v55, v14, v33
	v_sub_f32_e32 v56, v15, v34
	v_sub_f32_e32 v24, v8, v35
	v_sub_f32_e32 v25, v9, v45
	v_sub_f32_e32 v32, v10, v57
	v_sub_f32_e32 v33, v11, v58
	v_sub_f32_e32 v36, v4, v59
	v_sub_f32_e32 v37, v5, v60
	v_sub_f32_e32 v40, v6, v61
	v_sub_f32_e32 v41, v7, v62
	v_sub_f32_e32 v45, v1, v64
	v_lshlrev_b32_e32 v239, 3, v0
	v_and_or_b32 v0, v242, s2, v178
	v_fma_f32 v20, v20, 2.0, -v2
	v_fma_f32 v21, v21, 2.0, -v3
	;; [unrolled: 1-line block ×21, first 2 shown]
	v_lshlrev_b32_e32 v241, 3, v0
	ds_write2_b64 v231, v[20:21], v[2:3] offset1:2
	ds_write2_b64 v232, v[22:23], v[28:29] offset1:2
	;; [unrolled: 1-line block ×10, first 2 shown]
	s_and_saveexec_b64 s[2:3], s[0:1]
	s_cbranch_execz .LBB0_11
; %bb.10:
	s_movk_i32 s14, 0x47c
	v_and_or_b32 v0, v240, s14, v178
	v_lshlrev_b32_e32 v0, 3, v0
	ds_write2_b64 v0, v[42:43], v[44:45] offset1:2
.LBB0_11:
	s_or_b64 exec, exec, s[2:3]
	v_add_u32_e32 v0, 0xc00, v175
	s_waitcnt lgkmcnt(0)
	; wave barrier
	s_waitcnt lgkmcnt(0)
	ds_read2_b64 v[28:31], v175 offset1:84
	ds_read2_b64 v[48:51], v175 offset0:168 offset1:252
	v_add_u32_e32 v1, 0x800, v175
	ds_read2_b64 v[56:59], v0 offset0:120 offset1:204
	v_add_u32_e32 v2, 0x1000, v175
	v_add_u32_e32 v0, 0x1800, v175
	ds_read2_b64 v[52:55], v1 offset0:80 offset1:164
	ds_read2_b64 v[60:63], v2 offset0:160 offset1:244
	;; [unrolled: 1-line block ×3, first 2 shown]
	ds_read_b64 v[72:73], v175 offset:8064
	v_cmp_gt_u16_e64 s[2:3], 32, v176
                                        ; implicit-def: $vgpr68
                                        ; implicit-def: $vgpr74
	s_and_saveexec_b64 s[14:15], s[2:3]
	s_cbranch_execz .LBB0_13
; %bb.12:
	v_add_u32_e32 v3, 0x400, v175
	ds_read2_b64 v[24:27], v175 offset0:52 offset1:136
	ds_read2_b64 v[32:35], v3 offset0:92 offset1:176
	;; [unrolled: 1-line block ×4, first 2 shown]
	v_add_u32_e32 v1, 0x1400, v175
	ds_read2_b64 v[44:47], v1 offset0:84 offset1:168
	ds_read2_b64 v[68:71], v0 offset0:124 offset1:208
	ds_read_b64 v[74:75], v175 offset:8480
.LBB0_13:
	s_or_b64 exec, exec, s[14:15]
	v_and_b32_e32 v243, 3, v176
	v_mul_u32_u24_e32 v0, 12, v243
	v_lshlrev_b32_e32 v20, 3, v0
	global_load_dwordx4 v[12:15], v20, s[4:5] offset:16
	global_load_dwordx4 v[8:11], v20, s[4:5] offset:32
	;; [unrolled: 1-line block ×5, first 2 shown]
	s_nop 0
	global_load_dwordx4 v[20:23], v20, s[4:5] offset:96
	s_mov_b32 s16, 0x3f62ad3f
	s_mov_b32 s18, 0x3f116cb1
	;; [unrolled: 1-line block ×6, first 2 shown]
	s_waitcnt lgkmcnt(0)
	; wave barrier
	s_waitcnt lgkmcnt(0)
	v_lshrrev_b32_e32 v230, 2, v89
	s_waitcnt vmcnt(5)
	v_mul_f32_e32 v78, v31, v13
	v_mul_f32_e32 v115, v27, v13
	;; [unrolled: 1-line block ×4, first 2 shown]
	s_waitcnt vmcnt(4)
	v_mul_f32_e32 v93, v36, v11
	v_fma_f32 v78, v30, v12, -v78
	v_fma_f32 v30, v26, v12, -v115
	s_waitcnt vmcnt(2)
	v_mul_f32_e32 v26, v45, v7
	v_mul_f32_e32 v116, v33, v15
	;; [unrolled: 1-line block ×5, first 2 shown]
	v_fmac_f32_e32 v93, v37, v10
	v_fma_f32 v37, v44, v6, -v26
	s_waitcnt vmcnt(1)
	v_mul_f32_e32 v26, v47, v17
	v_mul_f32_e32 v91, v32, v15
	v_mul_f32_e32 v92, v34, v9
	v_mul_f32_e32 v94, v38, v1
	v_fma_f32 v84, v32, v14, -v116
	v_fma_f32 v32, v34, v8, -v117
	;; [unrolled: 1-line block ×4, first 2 shown]
	v_mul_f32_e32 v26, v69, v19
	v_mul_f32_e32 v120, v41, v3
	v_fmac_f32_e32 v94, v39, v0
	v_fma_f32 v39, v68, v18, -v26
	s_waitcnt vmcnt(0)
	v_mul_f32_e32 v26, v71, v21
	v_mul_f32_e32 v82, v49, v15
	;; [unrolled: 1-line block ×4, first 2 shown]
	v_fmac_f32_e32 v92, v35, v8
	v_fma_f32 v35, v40, v2, -v120
	v_fma_f32 v40, v70, v20, -v26
	v_mul_f32_e32 v26, v75, v23
	v_mul_f32_e32 v83, v48, v15
	;; [unrolled: 1-line block ×4, first 2 shown]
	v_fma_f32 v48, v48, v14, -v82
	v_fmac_f32_e32 v91, v33, v14
	v_fma_f32 v33, v36, v10, -v118
	v_fma_f32 v36, v42, v4, -v121
	;; [unrolled: 1-line block ×3, first 2 shown]
	v_add_f32_e32 v26, v28, v78
	v_mul_f32_e32 v99, v53, v11
	v_fmac_f32_e32 v83, v49, v14
	v_fma_f32 v49, v50, v8, -v97
	v_add_f32_e32 v26, v26, v48
	v_mul_f32_e32 v98, v50, v9
	v_mul_f32_e32 v101, v55, v1
	v_fma_f32 v50, v52, v10, -v99
	v_add_f32_e32 v26, v26, v49
	v_mul_f32_e32 v103, v57, v3
	v_fmac_f32_e32 v98, v51, v8
	v_fma_f32 v51, v54, v0, -v101
	v_add_f32_e32 v26, v26, v50
	v_mul_f32_e32 v100, v52, v11
	v_mul_f32_e32 v104, v59, v5
	v_fma_f32 v52, v56, v2, -v103
	v_add_f32_e32 v26, v26, v51
	v_mul_f32_e32 v105, v61, v7
	v_fmac_f32_e32 v100, v53, v10
	v_fma_f32 v53, v58, v4, -v104
	v_add_f32_e32 v26, v26, v52
	v_mul_f32_e32 v102, v54, v1
	v_mul_f32_e32 v107, v63, v17
	v_fma_f32 v54, v60, v6, -v105
	v_add_f32_e32 v26, v26, v53
	v_mul_f32_e32 v109, v65, v19
	v_fmac_f32_e32 v102, v55, v0
	v_fma_f32 v55, v62, v16, -v107
	v_add_f32_e32 v26, v26, v54
	v_mul_f32_e32 v76, v56, v3
	v_mul_f32_e32 v111, v67, v21
	v_fma_f32 v56, v64, v18, -v109
	v_add_f32_e32 v26, v26, v55
	v_mul_f32_e32 v113, v73, v23
	v_fmac_f32_e32 v76, v57, v2
	v_fma_f32 v57, v66, v20, -v111
	v_add_f32_e32 v26, v26, v56
	v_mul_f32_e32 v77, v58, v5
	v_mul_f32_e32 v114, v72, v23
	v_fma_f32 v58, v72, v22, -v113
	v_fmac_f32_e32 v95, v41, v2
	v_fmac_f32_e32 v96, v43, v4
	v_mul_f32_e32 v41, v44, v7
	v_mul_f32_e32 v43, v46, v17
	v_add_f32_e32 v26, v26, v57
	v_mul_f32_e32 v108, v62, v17
	v_mul_f32_e32 v112, v66, v21
	v_fmac_f32_e32 v79, v31, v12
	v_fmac_f32_e32 v114, v73, v22
	;; [unrolled: 1-line block ×4, first 2 shown]
	v_mul_f32_e32 v45, v70, v21
	v_mul_f32_e32 v46, v74, v23
	v_add_f32_e32 v26, v26, v58
	v_add_f32_e32 v47, v78, v58
	v_sub_f32_e32 v58, v78, v58
	v_mul_f32_e32 v106, v60, v7
	v_mul_f32_e32 v110, v64, v19
	v_fmac_f32_e32 v108, v63, v16
	v_fmac_f32_e32 v112, v67, v20
	v_mul_f32_e32 v44, v68, v19
	v_fmac_f32_e32 v45, v71, v20
	v_fmac_f32_e32 v46, v75, v22
	v_sub_f32_e32 v60, v79, v114
	v_mul_f32_e32 v63, 0xbeedf032, v58
	v_mul_f32_e32 v67, 0xbf52af12, v58
	;; [unrolled: 1-line block ×6, first 2 shown]
	v_fmac_f32_e32 v77, v59, v4
	v_fmac_f32_e32 v106, v61, v6
	;; [unrolled: 1-line block ×5, first 2 shown]
	v_add_f32_e32 v27, v29, v79
	v_add_f32_e32 v59, v79, v114
	v_mul_f32_e32 v61, 0xbeedf032, v60
	v_mov_b32_e32 v64, v63
	v_mul_f32_e32 v65, 0xbf52af12, v60
	v_mov_b32_e32 v68, v67
	;; [unrolled: 2-line block ×6, first 2 shown]
	v_fma_f32 v62, v47, s16, -v61
	v_fmac_f32_e32 v64, 0x3f62ad3f, v59
	v_fmac_f32_e32 v61, 0x3f62ad3f, v47
	v_fma_f32 v63, v59, s16, -v63
	v_fma_f32 v66, v47, s18, -v65
	v_fmac_f32_e32 v68, 0x3f116cb1, v59
	v_fmac_f32_e32 v65, 0x3f116cb1, v47
	v_fma_f32 v67, v59, s18, -v67
	;; [unrolled: 4-line block ×6, first 2 shown]
	v_add_f32_e32 v64, v29, v64
	v_add_f32_e32 v63, v29, v63
	;; [unrolled: 1-line block ×13, first 2 shown]
	v_sub_f32_e32 v48, v48, v57
	v_sub_f32_e32 v57, v83, v112
	v_mul_f32_e32 v59, 0xbf52af12, v57
	v_add_f32_e32 v62, v28, v62
	v_add_f32_e32 v61, v28, v61
	v_add_f32_e32 v66, v28, v66
	v_add_f32_e32 v65, v28, v65
	v_add_f32_e32 v70, v28, v70
	v_add_f32_e32 v69, v28, v69
	v_add_f32_e32 v74, v28, v74
	v_add_f32_e32 v73, v28, v73
	v_add_f32_e32 v82, v28, v82
	v_add_f32_e32 v79, v28, v79
	v_add_f32_e32 v101, v28, v101
	v_add_f32_e32 v28, v28, v60
	v_fma_f32 v60, v47, s18, -v59
	v_add_f32_e32 v58, v83, v112
	v_add_f32_e32 v60, v60, v62
	v_mul_f32_e32 v62, 0xbf52af12, v48
	v_fmac_f32_e32 v59, 0x3f116cb1, v47
	v_add_f32_e32 v27, v27, v83
	v_mov_b32_e32 v83, v62
	v_add_f32_e32 v59, v59, v61
	v_fma_f32 v61, v58, s18, -v62
	v_mul_f32_e32 v62, 0xbf6f5d39, v57
	v_add_f32_e32 v61, v61, v63
	v_fma_f32 v63, v47, s20, -v62
	v_fmac_f32_e32 v83, 0x3f116cb1, v58
	v_add_f32_e32 v63, v63, v66
	v_mul_f32_e32 v66, 0xbf6f5d39, v48
	v_fmac_f32_e32 v62, 0xbeb58ec6, v47
	v_add_f32_e32 v64, v83, v64
	v_mov_b32_e32 v83, v66
	v_add_f32_e32 v62, v62, v65
	v_fma_f32 v65, v58, s20, -v66
	v_mul_f32_e32 v66, 0xbe750f2a, v57
	v_add_f32_e32 v65, v65, v67
	v_fma_f32 v67, v47, s22, -v66
	v_fmac_f32_e32 v83, 0xbeb58ec6, v58
	;; [unrolled: 11-line block ×4, first 2 shown]
	v_add_f32_e32 v75, v75, v82
	v_mul_f32_e32 v82, 0x3f7e222b, v48
	v_fmac_f32_e32 v74, 0x3df6dbef, v47
	v_mul_f32_e32 v57, 0x3eedf032, v57
	v_mul_f32_e32 v48, 0x3eedf032, v48
	v_add_f32_e32 v78, v83, v78
	v_mov_b32_e32 v83, v82
	v_add_f32_e32 v74, v74, v79
	v_fma_f32 v79, v58, s19, -v82
	v_fma_f32 v82, v47, s16, -v57
	v_fmac_f32_e32 v57, 0x3f62ad3f, v47
	v_fma_f32 v47, v58, s16, -v48
	v_add_f32_e32 v29, v47, v29
	v_add_f32_e32 v47, v49, v56
	v_sub_f32_e32 v49, v49, v56
	v_sub_f32_e32 v56, v98, v110
	v_add_f32_e32 v79, v79, v97
	v_mov_b32_e32 v97, v48
	v_add_f32_e32 v28, v57, v28
	v_mul_f32_e32 v57, 0xbf7e222b, v56
	v_fmac_f32_e32 v83, 0x3df6dbef, v58
	v_fmac_f32_e32 v97, 0x3f62ad3f, v58
	v_fma_f32 v58, v47, s19, -v57
	v_add_f32_e32 v48, v98, v110
	v_add_f32_e32 v58, v58, v60
	v_mul_f32_e32 v60, 0xbf7e222b, v49
	v_fmac_f32_e32 v57, 0x3df6dbef, v47
	v_add_f32_e32 v27, v27, v98
	v_mov_b32_e32 v98, v60
	v_add_f32_e32 v57, v57, v59
	v_fma_f32 v59, v48, s19, -v60
	v_mul_f32_e32 v60, 0xbe750f2a, v56
	v_add_f32_e32 v59, v59, v61
	v_fma_f32 v61, v47, s22, -v60
	v_fmac_f32_e32 v98, 0x3df6dbef, v48
	v_add_f32_e32 v61, v61, v63
	v_mul_f32_e32 v63, 0xbe750f2a, v49
	v_fmac_f32_e32 v60, 0xbf788fa5, v47
	v_add_f32_e32 v64, v98, v64
	v_mov_b32_e32 v98, v63
	v_add_f32_e32 v60, v60, v62
	v_fma_f32 v62, v48, s22, -v63
	v_mul_f32_e32 v63, 0x3f6f5d39, v56
	v_add_f32_e32 v62, v62, v65
	v_fma_f32 v65, v47, s20, -v63
	v_fmac_f32_e32 v98, 0xbf788fa5, v48
	;; [unrolled: 11-line block ×4, first 2 shown]
	v_add_f32_e32 v73, v73, v75
	v_mul_f32_e32 v75, 0xbf52af12, v49
	v_fmac_f32_e32 v71, 0x3f116cb1, v47
	v_mul_f32_e32 v56, 0xbf29c268, v56
	v_mul_f32_e32 v49, 0xbf29c268, v49
	v_add_f32_e32 v78, v98, v78
	v_mov_b32_e32 v98, v75
	v_add_f32_e32 v71, v71, v74
	v_fma_f32 v74, v48, s18, -v75
	v_fma_f32 v75, v47, s21, -v56
	v_fmac_f32_e32 v56, 0xbf3f9e67, v47
	v_fma_f32 v47, v48, s21, -v49
	v_add_f32_e32 v74, v74, v79
	v_mov_b32_e32 v79, v49
	v_add_f32_e32 v29, v47, v29
	v_add_f32_e32 v47, v50, v55
	v_sub_f32_e32 v49, v50, v55
	v_sub_f32_e32 v50, v100, v108
	v_mul_f32_e32 v55, 0xbf6f5d39, v50
	v_add_f32_e32 v28, v56, v28
	v_fma_f32 v56, v47, s20, -v55
	v_add_f32_e32 v82, v82, v101
	v_fmac_f32_e32 v98, 0x3f116cb1, v48
	v_fmac_f32_e32 v79, 0xbf3f9e67, v48
	v_add_f32_e32 v48, v100, v108
	v_add_f32_e32 v56, v56, v58
	v_mul_f32_e32 v58, 0xbf6f5d39, v49
	v_fmac_f32_e32 v55, 0xbeb58ec6, v47
	v_add_f32_e32 v75, v75, v82
	v_mov_b32_e32 v82, v58
	v_add_f32_e32 v55, v55, v57
	v_fma_f32 v57, v48, s20, -v58
	v_mul_f32_e32 v58, 0x3f29c268, v50
	v_add_f32_e32 v57, v57, v59
	v_fma_f32 v59, v47, s21, -v58
	v_fmac_f32_e32 v82, 0xbeb58ec6, v48
	v_add_f32_e32 v59, v59, v61
	v_mul_f32_e32 v61, 0x3f29c268, v49
	v_fmac_f32_e32 v58, 0xbf3f9e67, v47
	v_add_f32_e32 v64, v82, v64
	v_mov_b32_e32 v82, v61
	v_add_f32_e32 v58, v58, v60
	v_fma_f32 v60, v48, s21, -v61
	v_mul_f32_e32 v61, 0x3eedf032, v50
	v_add_f32_e32 v60, v60, v62
	v_fma_f32 v62, v47, s16, -v61
	v_fmac_f32_e32 v82, 0xbf3f9e67, v48
	;; [unrolled: 11-line block ×4, first 2 shown]
	v_add_f32_e32 v70, v70, v73
	v_mul_f32_e32 v73, 0x3e750f2a, v49
	v_fmac_f32_e32 v69, 0xbf788fa5, v47
	v_mul_f32_e32 v50, 0x3f52af12, v50
	v_add_f32_e32 v78, v82, v78
	v_mov_b32_e32 v82, v73
	v_add_f32_e32 v69, v69, v71
	v_fma_f32 v71, v48, s22, -v73
	v_fma_f32 v73, v47, s18, -v50
	v_mul_f32_e32 v49, 0x3f52af12, v49
	v_fmac_f32_e32 v50, 0x3f116cb1, v47
	v_add_f32_e32 v28, v50, v28
	v_fma_f32 v47, v48, s18, -v49
	v_sub_f32_e32 v50, v102, v106
	v_add_f32_e32 v71, v71, v74
	v_mov_b32_e32 v74, v49
	v_add_f32_e32 v29, v47, v29
	v_add_f32_e32 v47, v51, v54
	v_sub_f32_e32 v49, v51, v54
	v_mul_f32_e32 v51, 0xbf29c268, v50
	v_fma_f32 v54, v47, s21, -v51
	v_fmac_f32_e32 v82, 0xbf788fa5, v48
	v_fmac_f32_e32 v74, 0x3f116cb1, v48
	v_add_f32_e32 v48, v102, v106
	v_add_f32_e32 v54, v54, v56
	v_mul_f32_e32 v56, 0xbf29c268, v49
	v_fmac_f32_e32 v51, 0xbf3f9e67, v47
	v_add_f32_e32 v73, v73, v75
	v_mov_b32_e32 v75, v56
	v_add_f32_e32 v51, v51, v55
	v_fma_f32 v55, v48, s21, -v56
	v_mul_f32_e32 v56, 0x3f7e222b, v50
	v_add_f32_e32 v55, v55, v57
	v_fma_f32 v57, v47, s19, -v56
	v_fmac_f32_e32 v75, 0xbf3f9e67, v48
	v_add_f32_e32 v57, v57, v59
	v_mul_f32_e32 v59, 0x3f7e222b, v49
	v_fmac_f32_e32 v56, 0x3df6dbef, v47
	v_add_f32_e32 v64, v75, v64
	v_mov_b32_e32 v75, v59
	v_add_f32_e32 v56, v56, v58
	v_fma_f32 v58, v48, s19, -v59
	v_mul_f32_e32 v59, 0xbf52af12, v50
	v_add_f32_e32 v58, v58, v60
	v_fma_f32 v60, v47, s18, -v59
	v_fmac_f32_e32 v75, 0x3df6dbef, v48
	v_add_f32_e32 v60, v60, v62
	v_mul_f32_e32 v62, 0xbf52af12, v49
	v_fmac_f32_e32 v59, 0x3f116cb1, v47
	v_add_f32_e32 v68, v75, v68
	v_mov_b32_e32 v75, v62
	v_add_f32_e32 v59, v59, v61
	v_fma_f32 v61, v48, s18, -v62
	v_mul_f32_e32 v62, 0x3e750f2a, v50
	v_add_f32_e32 v61, v61, v63
	v_fma_f32 v63, v47, s22, -v62
	v_fmac_f32_e32 v75, 0x3f116cb1, v48
	v_add_f32_e32 v63, v63, v66
	v_mul_f32_e32 v66, 0x3e750f2a, v49
	v_fmac_f32_e32 v62, 0xbf788fa5, v47
	v_add_f32_e32 v72, v75, v72
	v_mov_b32_e32 v75, v66
	v_add_f32_e32 v62, v62, v65
	v_fma_f32 v65, v48, s22, -v66
	v_mul_f32_e32 v66, 0x3eedf032, v50
	v_add_f32_e32 v65, v65, v67
	v_fma_f32 v67, v47, s16, -v66
	v_fmac_f32_e32 v75, 0xbf788fa5, v48
	v_add_f32_e32 v67, v67, v70
	v_mul_f32_e32 v70, 0x3eedf032, v49
	v_fmac_f32_e32 v66, 0x3f62ad3f, v47
	v_mul_f32_e32 v50, 0xbf6f5d39, v50
	v_add_f32_e32 v75, v75, v78
	v_mov_b32_e32 v78, v70
	v_add_f32_e32 v66, v66, v69
	v_fma_f32 v69, v48, s16, -v70
	v_fma_f32 v70, v47, s20, -v50
	v_mul_f32_e32 v49, 0xbf6f5d39, v49
	v_fmac_f32_e32 v50, 0xbeb58ec6, v47
	v_add_f32_e32 v69, v69, v71
	v_mov_b32_e32 v71, v49
	v_add_f32_e32 v47, v50, v28
	v_fma_f32 v28, v48, s20, -v49
	v_add_f32_e32 v49, v52, v53
	v_sub_f32_e32 v52, v52, v53
	v_sub_f32_e32 v53, v76, v77
	v_add_f32_e32 v27, v27, v100
	v_fmac_f32_e32 v78, 0x3f62ad3f, v48
	v_fmac_f32_e32 v71, 0xbeb58ec6, v48
	v_add_f32_e32 v48, v28, v29
	v_mul_f32_e32 v28, 0xbe750f2a, v53
	v_add_f32_e32 v27, v27, v102
	v_fma_f32 v29, v49, s22, -v28
	v_add_f32_e32 v27, v27, v76
	v_add_f32_e32 v50, v76, v77
	;; [unrolled: 1-line block ×3, first 2 shown]
	v_mul_f32_e32 v29, 0xbe750f2a, v52
	v_add_f32_e32 v83, v83, v99
	v_mov_b32_e32 v54, v29
	v_fmac_f32_e32 v28, 0xbf788fa5, v49
	v_add_f32_e32 v83, v98, v83
	v_fmac_f32_e32 v54, 0xbf788fa5, v50
	v_add_f32_e32 v28, v28, v51
	v_mul_f32_e32 v51, 0x3eedf032, v53
	v_add_f32_e32 v27, v27, v77
	v_add_f32_e32 v97, v97, v103
	;; [unrolled: 1-line block ×4, first 2 shown]
	v_fma_f32 v54, v49, s16, -v51
	v_add_f32_e32 v79, v79, v97
	v_add_f32_e32 v97, v78, v82
	;; [unrolled: 1-line block ×3, first 2 shown]
	v_mul_f32_e32 v54, 0x3eedf032, v52
	v_fmac_f32_e32 v51, 0x3f62ad3f, v49
	v_add_f32_e32 v82, v51, v56
	v_fma_f32 v51, v50, s16, -v54
	v_fma_f32 v29, v50, s22, -v29
	v_add_f32_e32 v83, v51, v58
	v_mul_f32_e32 v51, 0xbf29c268, v53
	v_add_f32_e32 v29, v29, v55
	v_mov_b32_e32 v55, v54
	v_fma_f32 v54, v49, s21, -v51
	v_add_f32_e32 v27, v27, v106
	v_add_f32_e32 v98, v54, v60
	v_mul_f32_e32 v54, 0xbf29c268, v52
	v_fmac_f32_e32 v51, 0xbf3f9e67, v49
	v_add_f32_e32 v27, v27, v108
	v_add_f32_e32 v108, v51, v59
	v_fma_f32 v51, v50, s21, -v54
	v_fmac_f32_e32 v55, 0x3f62ad3f, v50
	v_add_f32_e32 v109, v51, v61
	v_mul_f32_e32 v51, 0x3f52af12, v53
	v_add_f32_e32 v74, v74, v79
	v_add_f32_e32 v79, v55, v68
	v_mov_b32_e32 v55, v54
	v_fma_f32 v54, v49, s18, -v51
	v_add_f32_e32 v102, v54, v63
	v_mul_f32_e32 v54, 0x3f52af12, v52
	v_fmac_f32_e32 v51, 0x3f116cb1, v49
	v_add_f32_e32 v106, v51, v62
	v_fma_f32 v51, v50, s18, -v54
	v_fmac_f32_e32 v55, 0xbf3f9e67, v50
	v_add_f32_e32 v107, v51, v65
	v_mul_f32_e32 v51, 0xbf6f5d39, v53
	v_add_f32_e32 v27, v27, v110
	v_add_f32_e32 v99, v55, v72
	v_mov_b32_e32 v55, v54
	v_fma_f32 v54, v49, s20, -v51
	v_add_f32_e32 v27, v27, v112
	v_add_f32_e32 v104, v54, v67
	v_mul_f32_e32 v54, 0xbf6f5d39, v52
	v_fmac_f32_e32 v51, 0xbeb58ec6, v49
	v_add_f32_e32 v27, v27, v114
	v_add_f32_e32 v114, v51, v66
	v_fma_f32 v51, v50, s20, -v54
	v_add_f32_e32 v115, v51, v69
	v_mul_f32_e32 v51, 0x3f7e222b, v53
	v_fma_f32 v53, v49, s19, -v51
	v_mul_f32_e32 v52, 0x3f7e222b, v52
	v_fmac_f32_e32 v51, 0x3df6dbef, v49
	v_add_f32_e32 v118, v51, v47
	v_fma_f32 v47, v50, s19, -v52
	v_sub_f32_e32 v64, v90, v46
	v_add_f32_e32 v119, v47, v48
	v_mul_f32_e32 v48, 0xbeedf032, v64
	v_fmac_f32_e32 v55, 0x3f116cb1, v50
	v_add_f32_e32 v60, v30, v42
	v_sub_f32_e32 v62, v30, v42
	v_mov_b32_e32 v49, v48
	v_add_f32_e32 v103, v55, v75
	v_mov_b32_e32 v55, v54
	v_add_f32_e32 v66, v90, v46
	v_mul_f32_e32 v47, 0xbeedf032, v62
	v_fmac_f32_e32 v49, 0x3f62ad3f, v60
	v_add_f32_e32 v70, v70, v73
	v_fmac_f32_e32 v55, 0xbeb58ec6, v50
	v_add_f32_e32 v54, v24, v49
	v_fma_f32 v49, v66, s16, -v47
	v_add_f32_e32 v105, v55, v97
	v_add_f32_e32 v116, v53, v70
	v_mov_b32_e32 v53, v52
	v_add_f32_e32 v55, v25, v49
	v_mul_f32_e32 v49, 0xbf52af12, v64
	v_fmac_f32_e32 v53, 0x3df6dbef, v50
	v_mov_b32_e32 v50, v49
	v_mul_f32_e32 v51, 0xbf52af12, v62
	v_fmac_f32_e32 v50, 0x3f116cb1, v60
	v_add_f32_e32 v57, v24, v50
	v_fma_f32 v50, v66, s18, -v51
	v_mul_f32_e32 v31, 0xbf7e222b, v64
	v_add_f32_e32 v58, v25, v50
	v_mov_b32_e32 v50, v31
	v_fmac_f32_e32 v50, 0x3df6dbef, v60
	v_sub_f32_e32 v68, v91, v45
	v_add_f32_e32 v59, v24, v50
	v_mul_f32_e32 v50, 0xbf52af12, v68
	v_add_f32_e32 v63, v84, v40
	v_sub_f32_e32 v65, v84, v40
	v_mov_b32_e32 v56, v50
	v_add_f32_e32 v71, v71, v74
	v_add_f32_e32 v70, v91, v45
	v_mul_f32_e32 v52, 0xbf52af12, v65
	v_fmac_f32_e32 v56, 0x3f116cb1, v63
	v_add_f32_e32 v117, v53, v71
	v_add_f32_e32 v61, v56, v54
	v_fma_f32 v54, v70, s18, -v52
	v_mul_f32_e32 v53, 0xbf6f5d39, v68
	v_add_f32_e32 v71, v54, v55
	v_mov_b32_e32 v55, v53
	v_mul_f32_e32 v56, 0xbf6f5d39, v65
	v_fmac_f32_e32 v55, 0xbeb58ec6, v63
	v_add_f32_e32 v73, v55, v57
	v_fma_f32 v55, v70, s20, -v56
	v_mul_f32_e32 v226, 0xbe750f2a, v68
	v_add_f32_e32 v75, v55, v58
	v_mov_b32_e32 v55, v226
	v_sub_f32_e32 v72, v92, v44
	v_fmac_f32_e32 v55, 0xbf788fa5, v63
	v_mul_f32_e32 v54, 0xbf7e222b, v72
	v_add_f32_e32 v110, v55, v59
	v_add_f32_e32 v67, v32, v39
	v_sub_f32_e32 v69, v32, v39
	v_mov_b32_e32 v59, v54
	v_add_f32_e32 v74, v92, v44
	v_mul_f32_e32 v55, 0xbf7e222b, v69
	v_fmac_f32_e32 v59, 0x3df6dbef, v67
	v_add_f32_e32 v97, v59, v61
	v_fma_f32 v59, v74, s19, -v55
	v_mul_f32_e32 v253, 0xbe750f2a, v72
	v_add_f32_e32 v100, v59, v71
	v_mov_b32_e32 v71, v253
	v_lshrrev_b32_e32 v113, 2, v176
	v_mul_f32_e32 v59, 0xbe750f2a, v69
	v_fmac_f32_e32 v71, 0xbf788fa5, v67
	v_mul_u32_u24_e32 v113, 52, v113
	v_add_f32_e32 v111, v71, v73
	v_fma_f32 v71, v74, s22, -v59
	v_or_b32_e32 v113, v113, v243
	v_add_f32_e32 v112, v71, v75
	v_sub_f32_e32 v75, v93, v43
	v_lshlrev_b32_e32 v200, 3, v113
	ds_write2_b64 v200, v[26:27], v[76:77] offset1:4
	v_mul_f32_e32 v26, 0xbf6f5d39, v75
	v_add_f32_e32 v71, v33, v38
	v_sub_f32_e32 v73, v33, v38
	v_mov_b32_e32 v76, v26
	v_add_f32_e32 v101, v93, v43
	v_mul_f32_e32 v27, 0xbf6f5d39, v73
	v_fmac_f32_e32 v76, 0xbeb58ec6, v71
	v_add_f32_e32 v76, v76, v97
	v_fma_f32 v77, v101, s20, -v27
	v_mul_f32_e32 v97, 0x3f29c268, v75
	v_add_f32_e32 v77, v77, v100
	v_mov_b32_e32 v100, v97
	v_fmac_f32_e32 v100, 0xbf3f9e67, v71
	v_add_f32_e32 v120, v100, v111
	v_mul_f32_e32 v100, 0x3f29c268, v73
	v_sub_f32_e32 v121, v94, v41
	v_fma_f32 v111, v101, s21, -v100
	ds_write2_b64 v200, v[78:79], v[98:99] offset0:8 offset1:12
	v_mul_f32_e32 v98, 0xbf29c268, v121
	v_add_f32_e32 v112, v111, v112
	v_add_f32_e32 v111, v34, v37
	v_sub_f32_e32 v113, v34, v37
	v_mov_b32_e32 v78, v98
	v_add_f32_e32 v125, v94, v41
	v_mul_f32_e32 v99, 0xbf29c268, v113
	v_fmac_f32_e32 v78, 0xbf3f9e67, v111
	ds_write2_b64 v200, v[102:103], v[104:105] offset0:16 offset1:20
	v_add_f32_e32 v76, v78, v76
	v_fma_f32 v78, v125, s21, -v99
	v_mul_f32_e32 v102, 0x3f7e222b, v121
	v_add_f32_e32 v77, v78, v77
	v_mov_b32_e32 v78, v102
	v_sub_f32_e32 v201, v95, v96
	v_fmac_f32_e32 v78, 0x3df6dbef, v111
	v_mul_f32_e32 v103, 0xbe750f2a, v201
	v_add_f32_e32 v78, v78, v120
	v_add_f32_e32 v120, v35, v36
	v_sub_f32_e32 v122, v35, v36
	ds_write2_b64 v200, v[114:115], v[106:107] offset0:32 offset1:36
	v_mov_b32_e32 v106, v103
	v_add_f32_e32 v209, v95, v96
	v_mul_f32_e32 v104, 0xbe750f2a, v122
	v_fmac_f32_e32 v106, 0xbf788fa5, v120
	v_add_f32_e32 v171, v106, v76
	v_fma_f32 v76, v209, s22, -v104
	v_mul_f32_e32 v106, 0x3eedf032, v201
	v_mul_f32_e32 v105, 0x3f7e222b, v113
	v_add_f32_e32 v172, v76, v77
	v_mov_b32_e32 v76, v106
	v_fma_f32 v79, v125, s19, -v105
	v_mul_f32_e32 v107, 0x3eedf032, v122
	v_fmac_f32_e32 v76, 0x3f62ad3f, v120
	v_add_f32_e32 v79, v79, v112
	ds_write2_b64 v200, v[108:109], v[82:83] offset0:40 offset1:44
	v_add_f32_e32 v78, v76, v78
	v_fma_f32 v76, v209, s16, -v107
	v_mul_f32_e32 v108, 0x3f6f5d39, v72
	v_add_f32_e32 v79, v76, v79
	v_mov_b32_e32 v76, v108
	v_mul_f32_e32 v109, 0x3eedf032, v75
	v_fmac_f32_e32 v76, 0xbeb58ec6, v67
	v_mov_b32_e32 v77, v109
	v_add_f32_e32 v76, v76, v110
	v_fmac_f32_e32 v77, 0x3f62ad3f, v71
	v_mul_f32_e32 v110, 0xbf52af12, v121
	v_add_f32_e32 v76, v77, v76
	v_mov_b32_e32 v77, v110
	v_fmac_f32_e32 v77, 0x3f116cb1, v111
	v_mul_f32_e32 v112, 0xbf29c268, v201
	v_add_f32_e32 v76, v77, v76
	v_mov_b32_e32 v77, v112
	v_fmac_f32_e32 v77, 0xbf3f9e67, v120
	v_mul_f32_e32 v114, 0xbf7e222b, v62
	v_add_f32_e32 v76, v77, v76
	v_fma_f32 v77, v66, s19, -v114
	v_mul_f32_e32 v115, 0xbe750f2a, v65
	ds_write2_b64 v200, v[116:117], v[118:119] offset0:24 offset1:28
	v_add_f32_e32 v77, v25, v77
	v_fma_f32 v82, v70, s22, -v115
	v_mul_f32_e32 v116, 0x3f6f5d39, v69
	v_add_f32_e32 v77, v82, v77
	v_fma_f32 v82, v74, s20, -v116
	v_mul_f32_e32 v117, 0x3eedf032, v73
	;; [unrolled: 3-line block ×5, first 2 shown]
	v_add_f32_e32 v77, v82, v77
	v_mov_b32_e32 v82, v123
	v_mul_f32_e32 v124, 0x3f29c268, v68
	v_fmac_f32_e32 v82, 0xbeb58ec6, v60
	v_mov_b32_e32 v83, v124
	v_add_f32_e32 v82, v24, v82
	v_fmac_f32_e32 v83, 0xbf3f9e67, v63
	v_mul_f32_e32 v203, 0xbf6f5d39, v62
	v_add_f32_e32 v82, v83, v82
	v_fma_f32 v83, v66, s20, -v203
	v_mul_f32_e32 v205, 0x3f29c268, v65
	v_add_f32_e32 v83, v25, v83
	v_fma_f32 v126, v70, s21, -v205
	v_mul_f32_e32 v199, 0x3eedf032, v72
	v_add_f32_e32 v83, v126, v83
	v_mov_b32_e32 v126, v199
	v_fmac_f32_e32 v126, 0x3f62ad3f, v67
	v_mul_f32_e32 v207, 0x3eedf032, v69
	v_add_f32_e32 v82, v126, v82
	v_fma_f32 v126, v74, s16, -v207
	v_mul_f32_e32 v202, 0xbf7e222b, v75
	v_add_f32_e32 v83, v126, v83
	v_mov_b32_e32 v126, v202
	v_fmac_f32_e32 v126, 0x3df6dbef, v71
	;; [unrolled: 7-line block ×4, first 2 shown]
	v_mul_f32_e32 v211, 0x3f52af12, v122
	v_mul_f32_e32 v212, 0xbf29c268, v64
	v_fma_f32 v127, v209, s18, -v211
	v_add_f32_e32 v82, v126, v82
	v_mov_b32_e32 v126, v212
	v_mul_f32_e32 v213, 0x3f7e222b, v68
	v_add_f32_e32 v83, v127, v83
	v_fmac_f32_e32 v126, 0xbf3f9e67, v60
	v_mov_b32_e32 v127, v213
	v_add_f32_e32 v126, v24, v126
	v_fmac_f32_e32 v127, 0x3df6dbef, v63
	v_mul_f32_e32 v216, 0xbf29c268, v62
	v_add_f32_e32 v126, v127, v126
	v_fma_f32 v127, v66, s21, -v216
	v_mul_f32_e32 v218, 0x3f7e222b, v65
	v_add_f32_e32 v127, v25, v127
	v_fma_f32 v184, v70, s19, -v218
	v_mul_f32_e32 v214, 0xbf52af12, v72
	v_add_f32_e32 v127, v184, v127
	v_mov_b32_e32 v184, v214
	v_fmac_f32_e32 v184, 0x3f116cb1, v67
	v_mul_f32_e32 v220, 0xbf52af12, v69
	v_add_f32_e32 v126, v184, v126
	v_fma_f32 v184, v74, s18, -v220
	v_mul_f32_e32 v215, 0x3e750f2a, v75
	v_add_f32_e32 v127, v184, v127
	v_mov_b32_e32 v184, v215
	v_fmac_f32_e32 v184, 0xbf788fa5, v71
	;; [unrolled: 7-line block ×4, first 2 shown]
	v_mul_f32_e32 v223, 0xbf6f5d39, v122
	v_add_f32_e32 v126, v184, v126
	v_fma_f32 v184, v209, s20, -v223
	v_add_f32_e32 v127, v184, v127
	ds_write_b64 v200, v[28:29] offset:384
	s_and_saveexec_b64 s[14:15], s[2:3]
	s_cbranch_execz .LBB0_15
; %bb.14:
	v_mul_f32_e32 v28, 0x3f62ad3f, v60
	buffer_store_dword v28, off, s[24:27], 0 offset:52 ; 4-byte Folded Spill
	v_mul_f32_e32 v28, 0x3f62ad3f, v66
	buffer_store_dword v28, off, s[24:27], 0 offset:64 ; 4-byte Folded Spill
	buffer_store_dword v243, off, s[24:27], 0 offset:12 ; 4-byte Folded Spill
	;; [unrolled: 1-line block ×3, first 2 shown]
	v_mul_f32_e32 v28, 0x3f116cb1, v60
	buffer_store_dword v28, off, s[24:27], 0 offset:84 ; 4-byte Folded Spill
	buffer_store_dword v30, off, s[24:27], 0 offset:48 ; 4-byte Folded Spill
	v_mul_f32_e32 v28, 0x3f116cb1, v63
	buffer_store_dword v36, off, s[24:27], 0 offset:24 ; 4-byte Folded Spill
	buffer_store_dword v37, off, s[24:27], 0 offset:28 ; 4-byte Folded Spill
	;; [unrolled: 1-line block ×6, first 2 shown]
	buffer_store_dword v234, off, s[24:27], 0 ; 4-byte Folded Spill
	buffer_store_dword v176, off, s[24:27], 0 offset:4 ; 4-byte Folded Spill
	buffer_store_dword v178, off, s[24:27], 0 offset:8 ; 4-byte Folded Spill
	;; [unrolled: 1-line block ×4, first 2 shown]
	v_mul_f32_e32 v28, 0x3f116cb1, v70
	buffer_store_dword v28, off, s[24:27], 0 offset:100 ; 4-byte Folded Spill
	v_mul_f32_e32 v28, 0x3df6dbef, v67
	buffer_store_dword v28, off, s[24:27], 0 offset:68 ; 4-byte Folded Spill
	;; [unrolled: 2-line block ×3, first 2 shown]
	v_mul_f32_e32 v28, 0xbeb58ec6, v71
	v_mul_f32_e32 v185, 0x3f116cb1, v66
	;; [unrolled: 1-line block ×5, first 2 shown]
	buffer_store_dword v28, off, s[24:27], 0 offset:96 ; 4-byte Folded Spill
	v_mul_f32_e32 v28, 0xbf3f9e67, v111
	v_mul_f32_e32 v66, 0xbf788fa5, v66
	v_mov_b32_e32 v176, v47
	v_mov_b32_e32 v47, v236
	v_mul_f32_e32 v236, 0xbeb58ec6, v70
	v_mov_b32_e32 v234, v52
	v_mul_f32_e32 v52, 0xbf788fa5, v70
	buffer_store_dword v54, off, s[24:27], 0 offset:88 ; 4-byte Folded Spill
	v_mul_f32_e32 v54, 0xbf3f9e67, v70
	v_mul_f32_e32 v57, 0x3df6dbef, v70
	buffer_store_dword v28, off, s[24:27], 0 offset:104 ; 4-byte Folded Spill
	v_mov_b32_e32 v28, v66
	v_mul_f32_e32 v70, 0x3f62ad3f, v70
	v_fmac_f32_e32 v28, 0x3e750f2a, v62
	v_mov_b32_e32 v29, v70
	v_mul_f32_e32 v246, 0xbf788fa5, v74
	v_mul_f32_e32 v248, 0xbeb58ec6, v74
	;; [unrolled: 1-line block ×4, first 2 shown]
	v_add_f32_e32 v28, v25, v28
	v_fmac_f32_e32 v29, 0xbeedf032, v65
	v_mul_f32_e32 v74, 0xbf3f9e67, v74
	v_add_f32_e32 v28, v29, v28
	v_mov_b32_e32 v29, v74
	v_mul_f32_e32 v254, 0xbeb58ec6, v101
	v_mul_f32_e32 v182, 0xbf3f9e67, v101
	buffer_store_dword v33, off, s[24:27], 0 offset:56 ; 4-byte Folded Spill
	v_mul_f32_e32 v33, 0x3f62ad3f, v101
	v_mul_f32_e32 v129, 0x3df6dbef, v101
	;; [unrolled: 1-line block ×3, first 2 shown]
	v_fmac_f32_e32 v29, 0x3f29c268, v69
	v_mul_f32_e32 v101, 0x3f116cb1, v101
	v_add_f32_e32 v28, v29, v28
	v_mov_b32_e32 v29, v101
	v_mul_f32_e32 v186, 0xbf3f9e67, v125
	v_mul_f32_e32 v188, 0x3df6dbef, v125
	;; [unrolled: 1-line block ×4, first 2 shown]
	buffer_store_dword v34, off, s[24:27], 0 offset:72 ; 4-byte Folded Spill
	v_mul_f32_e32 v34, 0x3f62ad3f, v125
	v_fmac_f32_e32 v29, 0xbf52af12, v73
	v_mul_f32_e32 v125, 0xbeb58ec6, v125
	v_add_f32_e32 v28, v29, v28
	v_mov_b32_e32 v29, v125
	v_mul_f32_e32 v88, 0xbf788fa5, v209
	v_mov_b32_e32 v233, v87
	v_mov_b32_e32 v87, v174
	v_mul_f32_e32 v174, 0x3f62ad3f, v209
	v_mul_f32_e32 v85, 0xbf3f9e67, v209
	;; [unrolled: 1-line block ×4, first 2 shown]
	v_fmac_f32_e32 v29, 0x3f6f5d39, v113
	v_mul_f32_e32 v209, 0x3df6dbef, v209
	v_add_f32_e32 v28, v29, v28
	v_mov_b32_e32 v29, v209
	v_fmac_f32_e32 v29, 0xbf7e222b, v122
	v_mul_f32_e32 v162, 0xbe750f2a, v64
	v_add_f32_e32 v29, v29, v28
	v_mov_b32_e32 v28, v162
	v_mul_f32_e32 v68, 0x3eedf032, v68
	v_fmac_f32_e32 v28, 0xbf788fa5, v60
	v_mov_b32_e32 v64, v68
	v_add_f32_e32 v28, v24, v28
	v_fmac_f32_e32 v64, 0x3f62ad3f, v63
	v_mul_f32_e32 v72, 0xbf29c268, v72
	v_add_f32_e32 v28, v64, v28
	v_mov_b32_e32 v64, v72
	v_fmac_f32_e32 v64, 0xbf3f9e67, v67
	v_mul_f32_e32 v75, 0x3f52af12, v75
	v_add_f32_e32 v28, v64, v28
	v_mov_b32_e32 v64, v75
	v_fmac_f32_e32 v66, 0xbe750f2a, v62
	v_fmac_f32_e32 v64, 0x3f116cb1, v71
	v_mul_f32_e32 v121, 0xbf6f5d39, v121
	v_add_f32_e32 v62, v25, v66
	v_fmac_f32_e32 v70, 0x3eedf032, v65
	v_add_f32_e32 v28, v64, v28
	v_mov_b32_e32 v64, v121
	v_add_f32_e32 v62, v70, v62
	v_fmac_f32_e32 v74, 0xbf29c268, v69
	v_fmac_f32_e32 v64, 0xbeb58ec6, v111
	v_mul_f32_e32 v201, 0x3f7e222b, v201
	v_add_f32_e32 v62, v74, v62
	v_fmac_f32_e32 v101, 0x3f52af12, v73
	v_add_f32_e32 v28, v64, v28
	v_mov_b32_e32 v64, v201
	v_add_f32_e32 v62, v101, v62
	v_fmac_f32_e32 v125, 0xbf6f5d39, v113
	v_mul_f32_e32 v36, 0x3df6dbef, v60
	v_mul_f32_e32 v38, 0xbeb58ec6, v60
	;; [unrolled: 1-line block ×3, first 2 shown]
	v_fmac_f32_e32 v64, 0x3df6dbef, v120
	v_add_f32_e32 v62, v125, v62
	v_fmac_f32_e32 v209, 0x3f7e222b, v122
	v_fma_f32 v60, v60, s22, -v162
	v_add_f32_e32 v28, v64, v28
	v_add_f32_e32 v64, v209, v62
	;; [unrolled: 1-line block ×3, first 2 shown]
	v_fma_f32 v62, v63, s16, -v68
	v_add_f32_e32 v60, v62, v60
	v_fma_f32 v62, v67, s21, -v72
	v_add_f32_e32 v60, v62, v60
	;; [unrolled: 2-line block ×4, first 2 shown]
	v_fma_f32 v62, v120, s19, -v201
	buffer_store_dword v48, off, s[24:27], 0 offset:80 ; 4-byte Folded Spill
	v_mul_f32_e32 v48, 0xbeb58ec6, v63
	v_mul_f32_e32 v61, 0xbf788fa5, v63
	v_mov_b32_e32 v30, v53
	v_mul_f32_e32 v53, 0xbf3f9e67, v63
	v_mov_b32_e32 v178, v50
	v_mul_f32_e32 v50, 0x3df6dbef, v63
	v_add_f32_e32 v63, v62, v60
	v_add_f32_e32 v60, v216, v42
	;; [unrolled: 1-line block ×13, first 2 shown]
	v_sub_f32_e32 v60, v40, v212
	v_mul_f32_e32 v251, 0x3f116cb1, v67
	v_add_f32_e32 v60, v24, v60
	v_sub_f32_e32 v62, v50, v213
	v_mul_f32_e32 v243, 0xbf788fa5, v71
	v_add_f32_e32 v60, v62, v60
	v_sub_f32_e32 v62, v251, v214
	buffer_store_dword v32, off, s[24:27], 0 offset:76 ; 4-byte Folded Spill
	v_mul_f32_e32 v32, 0x3f62ad3f, v111
	v_add_f32_e32 v60, v62, v60
	v_sub_f32_e32 v62, v243, v215
	v_mul_f32_e32 v181, 0xbeb58ec6, v120
	v_add_f32_e32 v60, v62, v60
	v_sub_f32_e32 v62, v32, v217
	v_add_f32_e32 v60, v62, v60
	v_sub_f32_e32 v62, v181, v219
	v_add_f32_e32 v65, v62, v60
	v_add_f32_e32 v60, v203, v39
	;; [unrolled: 1-line block ×13, first 2 shown]
	v_sub_f32_e32 v60, v38, v123
	v_mul_f32_e32 v249, 0x3f62ad3f, v67
	v_add_f32_e32 v60, v24, v60
	v_sub_f32_e32 v62, v53, v124
	v_sub_f32_e32 v53, v36, v31
	v_mul_f32_e32 v247, 0xbeb58ec6, v67
	v_mul_f32_e32 v128, 0x3df6dbef, v71
	v_add_f32_e32 v60, v62, v60
	v_sub_f32_e32 v62, v249, v199
	v_add_f32_e32 v53, v24, v53
	v_sub_f32_e32 v58, v61, v226
	v_mul_f32_e32 v184, 0x3f62ad3f, v71
	v_mul_f32_e32 v191, 0xbf788fa5, v111
	v_add_f32_e32 v60, v62, v60
	v_sub_f32_e32 v62, v128, v202
	v_add_f32_e32 v53, v58, v53
	;; [unrolled: 6-line block ×3, first 2 shown]
	v_sub_f32_e32 v58, v184, v109
	v_mul_f32_e32 v84, 0xbf3f9e67, v120
	v_add_f32_e32 v60, v62, v60
	v_sub_f32_e32 v62, v86, v206
	v_add_f32_e32 v53, v58, v53
	v_sub_f32_e32 v58, v189, v110
	v_mul_f32_e32 v245, 0xbf788fa5, v67
	v_add_f32_e32 v67, v62, v60
	v_add_f32_e32 v60, v114, v37
	v_add_f32_e32 v53, v58, v53
	v_sub_f32_e32 v58, v84, v112
	v_add_f32_e32 v51, v51, v185
	v_add_f32_e32 v60, v25, v60
	;; [unrolled: 1-line block ×24, first 2 shown]
	buffer_load_dword v31, off, s[24:27], 0 offset:84 ; 4-byte Folded Reload
	v_sub_f32_e32 v51, v48, v30
	buffer_load_dword v30, off, s[24:27], 0 offset:64 ; 4-byte Folded Reload
	v_mov_b32_e32 v174, v87
	v_mov_b32_e32 v87, v233
	buffer_load_dword v233, off, s[24:27], 0 offset:16 ; 4-byte Folded Reload
	buffer_load_dword v243, off, s[24:27], 0 offset:12 ; 4-byte Folded Reload
	v_mul_f32_e32 v255, 0xbf3f9e67, v71
	v_mul_f32_e32 v187, 0x3df6dbef, v111
	buffer_store_dword v35, off, s[24:27], 0 offset:92 ; 4-byte Folded Spill
	v_mul_f32_e32 v35, 0x3f62ad3f, v120
	v_mov_b32_e32 v236, v47
	v_add_f32_e32 v27, v27, v254
	v_mul_f32_e32 v89, 0xbf788fa5, v120
	s_waitcnt vmcnt(4)
	v_sub_f32_e32 v49, v31, v49
	v_add_f32_e32 v49, v24, v49
	s_waitcnt vmcnt(3)
	v_add_f32_e32 v48, v176, v30
	buffer_load_dword v30, off, s[24:27], 0 offset:100 ; 4-byte Folded Reload
	v_add_f32_e32 v49, v51, v49
	v_sub_f32_e32 v51, v245, v253
	v_add_f32_e32 v49, v51, v49
	v_sub_f32_e32 v51, v255, v97
	;; [unrolled: 2-line block ×4, first 2 shown]
	v_add_f32_e32 v59, v51, v49
	v_add_f32_e32 v48, v25, v48
	;; [unrolled: 1-line block ×14, first 2 shown]
	s_waitcnt vmcnt(0)
	v_add_f32_e32 v49, v234, v30
	buffer_load_dword v30, off, s[24:27], 0 offset:108 ; 4-byte Folded Reload
	v_add_f32_e32 v48, v49, v48
	s_waitcnt vmcnt(0)
	v_add_f32_e32 v49, v55, v30
	buffer_load_dword v30, off, s[24:27], 0 offset:52 ; 4-byte Folded Reload
	buffer_load_dword v31, off, s[24:27], 0 offset:80 ; 4-byte Folded Reload
	v_add_f32_e32 v48, v49, v48
	v_add_f32_e32 v27, v27, v48
	;; [unrolled: 1-line block ×6, first 2 shown]
	s_waitcnt vmcnt(0)
	v_sub_f32_e32 v47, v30, v31
	buffer_load_dword v30, off, s[24:27], 0 offset:60 ; 4-byte Folded Reload
	v_add_f32_e32 v47, v24, v47
	s_waitcnt vmcnt(0)
	v_sub_f32_e32 v48, v30, v178
	buffer_load_dword v178, off, s[24:27], 0 offset:8 ; 4-byte Folded Reload
	buffer_load_dword v176, off, s[24:27], 0 offset:4 ; 4-byte Folded Reload
	buffer_load_dword v234, off, s[24:27], 0 ; 4-byte Folded Reload
	buffer_load_dword v30, off, s[24:27], 0 offset:68 ; 4-byte Folded Reload
	buffer_load_dword v31, off, s[24:27], 0 offset:88 ; 4-byte Folded Reload
	v_add_f32_e32 v47, v48, v47
	s_waitcnt vmcnt(0)
	v_sub_f32_e32 v48, v30, v31
	buffer_load_dword v30, off, s[24:27], 0 offset:96 ; 4-byte Folded Reload
	v_add_f32_e32 v47, v48, v47
	s_waitcnt vmcnt(0)
	v_sub_f32_e32 v26, v30, v26
	;; [unrolled: 4-line block ×3, first 2 shown]
	buffer_load_dword v30, off, s[24:27], 0 offset:48 ; 4-byte Folded Reload
	v_add_f32_e32 v26, v47, v26
	v_sub_f32_e32 v47, v89, v103
	v_add_f32_e32 v26, v47, v26
	s_waitcnt vmcnt(0)
	v_add_f32_e32 v24, v24, v30
	buffer_load_dword v30, off, s[24:27], 0 offset:20 ; 4-byte Folded Reload
	s_waitcnt vmcnt(0)
	v_add_f32_e32 v24, v24, v30
	buffer_load_dword v30, off, s[24:27], 0 offset:76 ; 4-byte Folded Reload
	s_waitcnt vmcnt(0)
	v_add_f32_e32 v24, v24, v30
	buffer_load_dword v30, off, s[24:27], 0 offset:56 ; 4-byte Folded Reload
	s_waitcnt vmcnt(0)
	v_add_f32_e32 v24, v24, v30
	buffer_load_dword v30, off, s[24:27], 0 offset:72 ; 4-byte Folded Reload
	s_waitcnt vmcnt(0)
	v_add_f32_e32 v24, v24, v30
	buffer_load_dword v30, off, s[24:27], 0 offset:92 ; 4-byte Folded Reload
	s_waitcnt vmcnt(0)
	v_add_f32_e32 v24, v24, v30
	buffer_load_dword v30, off, s[24:27], 0 offset:24 ; 4-byte Folded Reload
	s_waitcnt vmcnt(0)
	v_add_f32_e32 v24, v24, v30
	buffer_load_dword v30, off, s[24:27], 0 offset:28 ; 4-byte Folded Reload
	s_waitcnt vmcnt(0)
	v_add_f32_e32 v24, v24, v30
	buffer_load_dword v30, off, s[24:27], 0 offset:32 ; 4-byte Folded Reload
	s_waitcnt vmcnt(0)
	v_add_f32_e32 v24, v24, v30
	buffer_load_dword v30, off, s[24:27], 0 offset:36 ; 4-byte Folded Reload
	s_waitcnt vmcnt(0)
	v_add_f32_e32 v24, v24, v30
	buffer_load_dword v30, off, s[24:27], 0 offset:40 ; 4-byte Folded Reload
	s_waitcnt vmcnt(0)
	v_add_f32_e32 v24, v24, v30
	buffer_load_dword v30, off, s[24:27], 0 offset:44 ; 4-byte Folded Reload
	s_waitcnt vmcnt(0)
	v_add_f32_e32 v24, v24, v30
	v_mul_u32_u24_e32 v30, 52, v230
	v_or_b32_e32 v30, v30, v243
	v_lshlrev_b32_e32 v30, 3, v30
	ds_write2_b64 v30, v[24:25], v[26:27] offset1:4
	ds_write2_b64 v30, v[59:60], v[69:70] offset0:8 offset1:12
	ds_write2_b64 v30, v[67:68], v[65:66] offset0:16 offset1:20
	;; [unrolled: 1-line block ×5, first 2 shown]
	ds_write_b64 v30, v[171:172] offset:384
.LBB0_15:
	s_or_b64 exec, exec, s[14:15]
	v_mad_u64_u32 v[36:37], s[14:15], v176, 48, s[4:5]
	s_movk_i32 s14, 0x4f
	s_waitcnt lgkmcnt(0)
	; wave barrier
	s_waitcnt lgkmcnt(0)
	global_load_dwordx4 v[32:35], v[36:37], off offset:400
	global_load_dwordx4 v[28:31], v[36:37], off offset:416
	;; [unrolled: 1-line block ×3, first 2 shown]
	v_mul_lo_u16_sdwa v36, v244, s14 dst_sel:DWORD dst_unused:UNUSED_PAD src0_sel:BYTE_0 src1_sel:DWORD
	v_lshrrev_b16_e32 v36, 12, v36
	v_mul_lo_u16_e32 v36, 52, v36
	v_sub_u16_e32 v36, v244, v36
	v_and_b32_e32 v84, 0xff, v36
	v_mad_u64_u32 v[36:37], s[14:15], v84, 48, s[4:5]
	global_load_dwordx4 v[44:47], v[36:37], off offset:400
	global_load_dwordx4 v[40:43], v[36:37], off offset:416
	s_nop 0
	global_load_dwordx4 v[36:39], v[36:37], off offset:432
	ds_read2_b64 v[48:51], v175 offset1:52
	ds_read2_b64 v[52:55], v175 offset0:104 offset1:156
	v_add_u32_e32 v88, 0x800, v175
	v_add_u32_e32 v91, 0x1000, v175
	;; [unrolled: 1-line block ×5, first 2 shown]
	ds_read_b64 v[96:97], v175 offset:8320
	ds_read2_b64 v[56:59], v88 offset0:56 offset1:108
	ds_read2_b64 v[60:63], v88 offset0:160 offset1:212
	;; [unrolled: 1-line block ×8, first 2 shown]
	s_mov_b32 s14, 0x3f5ff5aa
	s_mov_b32 s15, 0x3f3bfb3b
	;; [unrolled: 1-line block ×4, first 2 shown]
	v_lshlrev_b32_e32 v199, 3, v84
	s_waitcnt lgkmcnt(0)
	; wave barrier
	s_waitcnt lgkmcnt(0)
	v_lshlrev_b32_e32 v201, 3, v174
	v_mov_b32_e32 v84, s17
	s_waitcnt vmcnt(5)
	v_mul_f32_e32 v108, v56, v35
	s_waitcnt vmcnt(4)
	v_mul_f32_e32 v111, v65, v31
	s_waitcnt vmcnt(3)
	v_mul_f32_e32 v114, v70, v25
	v_mul_f32_e32 v119, v59, v35
	v_mul_f32_e32 v85, v55, v33
	;; [unrolled: 1-line block ×7, first 2 shown]
	v_fmac_f32_e32 v108, v57, v34
	v_fma_f32 v57, v64, v30, -v111
	v_fmac_f32_e32 v114, v71, v24
	v_fma_f32 v71, v58, v34, -v119
	s_waitcnt vmcnt(2)
	v_mul_f32_e32 v58, v95, v45
	s_waitcnt vmcnt(1)
	v_mul_f32_e32 v64, v102, v41
	v_mul_f32_e32 v86, v54, v33
	;; [unrolled: 1-line block ×3, first 2 shown]
	v_fma_f32 v54, v54, v32, -v85
	v_fmac_f32_e32 v122, v100, v28
	v_mul_f32_e32 v85, v94, v45
	v_fma_f32 v94, v94, v44, -v58
	v_fma_f32 v100, v101, v40, -v64
	v_mul_f32_e32 v101, v101, v41
	v_mul_f32_e32 v58, v69, v43
	;; [unrolled: 1-line block ×6, first 2 shown]
	v_fmac_f32_e32 v101, v102, v40
	v_fma_f32 v102, v68, v42, -v58
	s_waitcnt vmcnt(0)
	v_mul_f32_e32 v58, v106, v37
	v_mul_f32_e32 v116, v72, v27
	;; [unrolled: 1-line block ×3, first 2 shown]
	v_fmac_f32_e32 v86, v55, v32
	v_fma_f32 v55, v56, v34, -v107
	v_fma_f32 v56, v62, v28, -v109
	v_fmac_f32_e32 v110, v63, v28
	v_fma_f32 v62, v70, v24, -v113
	v_fma_f32 v63, v72, v26, -v115
	;; [unrolled: 1-line block ×3, first 2 shown]
	v_fmac_f32_e32 v128, v104, v24
	v_mul_f32_e32 v99, v60, v47
	v_fma_f32 v104, v105, v36, -v58
	v_mul_f32_e32 v105, v105, v37
	v_mul_f32_e32 v58, v97, v39
	;; [unrolled: 1-line block ×3, first 2 shown]
	v_fmac_f32_e32 v116, v73, v26
	v_fmac_f32_e32 v120, v59, v34
	v_mul_f32_e32 v59, v61, v47
	v_fmac_f32_e32 v99, v61, v46
	v_fmac_f32_e32 v105, v106, v36
	v_fma_f32 v106, v96, v38, -v58
	v_add_f32_e32 v58, v54, v63
	v_add_f32_e32 v61, v55, v62
	v_mul_f32_e32 v123, v67, v31
	v_mul_f32_e32 v129, v75, v27
	v_fmac_f32_e32 v112, v65, v30
	v_fmac_f32_e32 v124, v67, v30
	v_fma_f32 v67, v103, v24, -v125
	v_fmac_f32_e32 v85, v95, v44
	v_fma_f32 v95, v60, v46, -v59
	v_mul_f32_e32 v103, v68, v43
	v_add_f32_e32 v59, v86, v116
	v_sub_f32_e32 v54, v54, v63
	v_add_f32_e32 v63, v108, v114
	v_add_f32_e32 v64, v56, v57
	;; [unrolled: 1-line block ×3, first 2 shown]
	v_mul_f32_e32 v162, v74, v27
	v_fma_f32 v73, v74, v26, -v129
	v_fmac_f32_e32 v103, v69, v42
	v_add_f32_e32 v65, v110, v112
	v_add_f32_e32 v69, v63, v59
	v_sub_f32_e32 v74, v61, v58
	v_sub_f32_e32 v58, v58, v64
	;; [unrolled: 1-line block ×3, first 2 shown]
	v_add_f32_e32 v64, v64, v68
	v_mul_f32_e32 v118, v92, v33
	v_fmac_f32_e32 v162, v75, v26
	v_sub_f32_e32 v55, v55, v62
	v_sub_f32_e32 v56, v57, v56
	;; [unrolled: 1-line block ×5, first 2 shown]
	v_add_f32_e32 v65, v65, v69
	v_add_f32_e32 v48, v48, v64
	v_mul_f32_e32 v117, v93, v33
	v_fmac_f32_e32 v118, v93, v32
	v_mul_f32_e32 v96, v96, v39
	v_sub_f32_e32 v60, v86, v116
	v_sub_f32_e32 v62, v108, v114
	;; [unrolled: 1-line block ×3, first 2 shown]
	v_add_f32_e32 v86, v56, v55
	v_sub_f32_e32 v93, v56, v55
	v_sub_f32_e32 v55, v55, v54
	v_add_f32_e32 v49, v49, v65
	v_mov_b32_e32 v107, v48
	v_fma_f32 v70, v92, v32, -v117
	v_fmac_f32_e32 v96, v97, v38
	v_add_f32_e32 v92, v57, v62
	v_sub_f32_e32 v97, v57, v62
	v_sub_f32_e32 v56, v54, v56
	;; [unrolled: 1-line block ×3, first 2 shown]
	v_add_f32_e32 v54, v86, v54
	v_mul_f32_e32 v58, 0x3f4a47b2, v58
	v_mul_f32_e32 v59, 0x3f4a47b2, v59
	;; [unrolled: 1-line block ×6, first 2 shown]
	v_fmac_f32_e32 v107, 0xbf955555, v64
	v_mov_b32_e32 v64, v49
	v_sub_f32_e32 v57, v60, v57
	v_add_f32_e32 v60, v92, v60
	v_mul_f32_e32 v92, 0xbf08b237, v97
	v_mul_f32_e32 v97, 0x3f5ff5aa, v62
	v_fmac_f32_e32 v64, 0xbf955555, v65
	v_fma_f32 v65, v74, s15, -v68
	v_fma_f32 v68, v75, s15, -v69
	;; [unrolled: 1-line block ×3, first 2 shown]
	v_fmac_f32_e32 v58, 0x3d64c772, v61
	v_fma_f32 v61, v75, s16, -v59
	v_fmac_f32_e32 v59, 0x3d64c772, v63
	v_fma_f32 v63, v55, s14, -v86
	v_fma_f32 v74, v56, s18, -v93
	v_fmac_f32_e32 v86, 0x3eae86e6, v56
	v_fma_f32 v62, v62, s14, -v92
	v_fmac_f32_e32 v92, 0x3eae86e6, v57
	v_fma_f32 v75, v57, s18, -v97
	v_add_f32_e32 v97, v59, v64
	v_add_f32_e32 v68, v68, v64
	;; [unrolled: 1-line block ×3, first 2 shown]
	v_fmac_f32_e32 v63, 0x3ee1c552, v54
	v_fmac_f32_e32 v74, 0x3ee1c552, v54
	v_fma_f32 v66, v66, v30, -v123
	v_add_f32_e32 v93, v58, v107
	v_add_f32_e32 v65, v65, v107
	;; [unrolled: 1-line block ×3, first 2 shown]
	v_fmac_f32_e32 v86, 0x3ee1c552, v54
	v_fmac_f32_e32 v92, 0x3ee1c552, v60
	;; [unrolled: 1-line block ×4, first 2 shown]
	v_sub_f32_e32 v57, v64, v74
	v_add_f32_e32 v59, v63, v68
	v_sub_f32_e32 v61, v68, v63
	v_add_f32_e32 v63, v74, v64
	v_add_f32_e32 v68, v70, v73
	;; [unrolled: 1-line block ×4, first 2 shown]
	v_sub_f32_e32 v55, v97, v86
	v_add_f32_e32 v56, v75, v69
	v_sub_f32_e32 v58, v65, v62
	v_add_f32_e32 v60, v62, v65
	v_sub_f32_e32 v62, v69, v75
	v_sub_f32_e32 v64, v93, v92
	v_add_f32_e32 v65, v86, v97
	v_add_f32_e32 v69, v118, v162
	;; [unrolled: 1-line block ×7, first 2 shown]
	v_sub_f32_e32 v107, v74, v68
	v_sub_f32_e32 v68, v68, v86
	;; [unrolled: 1-line block ×3, first 2 shown]
	v_add_f32_e32 v86, v86, v93
	v_sub_f32_e32 v70, v70, v73
	v_sub_f32_e32 v67, v71, v67
	;; [unrolled: 1-line block ×6, first 2 shown]
	v_add_f32_e32 v92, v92, v97
	v_add_f32_e32 v50, v50, v86
	v_sub_f32_e32 v73, v118, v162
	v_sub_f32_e32 v71, v120, v128
	;; [unrolled: 1-line block ×3, first 2 shown]
	v_add_f32_e32 v109, v66, v67
	v_sub_f32_e32 v111, v66, v67
	v_sub_f32_e32 v67, v67, v70
	v_add_f32_e32 v51, v51, v92
	v_mov_b32_e32 v113, v50
	v_add_f32_e32 v110, v72, v71
	v_sub_f32_e32 v112, v72, v71
	v_sub_f32_e32 v66, v70, v66
	;; [unrolled: 1-line block ×3, first 2 shown]
	v_add_f32_e32 v70, v109, v70
	v_mul_f32_e32 v68, 0x3f4a47b2, v68
	v_mul_f32_e32 v69, 0x3f4a47b2, v69
	;; [unrolled: 1-line block ×6, first 2 shown]
	v_fmac_f32_e32 v113, 0xbf955555, v86
	v_mov_b32_e32 v86, v51
	v_sub_f32_e32 v72, v73, v72
	v_add_f32_e32 v73, v110, v73
	v_mul_f32_e32 v110, 0xbf08b237, v112
	v_mul_f32_e32 v112, 0x3f5ff5aa, v71
	v_fmac_f32_e32 v86, 0xbf955555, v92
	v_fma_f32 v92, v107, s15, -v93
	v_fma_f32 v93, v108, s15, -v97
	;; [unrolled: 1-line block ×3, first 2 shown]
	v_fmac_f32_e32 v68, 0x3d64c772, v74
	v_fma_f32 v74, v108, s16, -v69
	v_fmac_f32_e32 v69, 0x3d64c772, v75
	v_fma_f32 v75, v67, s14, -v109
	v_fma_f32 v108, v66, s18, -v111
	v_fma_f32 v107, v71, s14, -v110
	v_fmac_f32_e32 v110, 0x3eae86e6, v72
	v_fma_f32 v111, v72, s18, -v112
	v_add_f32_e32 v114, v69, v86
	v_add_f32_e32 v72, v92, v113
	;; [unrolled: 1-line block ×4, first 2 shown]
	v_fmac_f32_e32 v75, 0x3ee1c552, v70
	v_fmac_f32_e32 v108, 0x3ee1c552, v70
	v_add_f32_e32 v93, v97, v113
	v_fmac_f32_e32 v110, 0x3ee1c552, v73
	v_fmac_f32_e32 v107, 0x3ee1c552, v73
	;; [unrolled: 1-line block ×3, first 2 shown]
	v_sub_f32_e32 v69, v86, v108
	v_add_f32_e32 v71, v75, v92
	v_sub_f32_e32 v73, v92, v75
	v_add_f32_e32 v75, v108, v86
	v_add_f32_e32 v86, v94, v106
	;; [unrolled: 1-line block ×3, first 2 shown]
	v_sub_f32_e32 v85, v85, v96
	v_add_f32_e32 v96, v95, v104
	v_sub_f32_e32 v94, v94, v106
	v_add_f32_e32 v106, v99, v105
	;; [unrolled: 2-line block ×4, first 2 shown]
	v_fmac_f32_e32 v109, 0x3eae86e6, v66
	v_sub_f32_e32 v99, v99, v105
	v_add_f32_e32 v105, v101, v103
	v_sub_f32_e32 v101, v103, v101
	v_add_f32_e32 v103, v106, v97
	v_add_f32_e32 v102, v104, v102
	;; [unrolled: 1-line block ×3, first 2 shown]
	v_fmac_f32_e32 v109, 0x3ee1c552, v70
	v_add_f32_e32 v103, v105, v103
	v_add_f32_e32 v52, v52, v102
	;; [unrolled: 1-line block ×3, first 2 shown]
	v_sub_f32_e32 v67, v114, v109
	v_add_f32_e32 v68, v111, v93
	v_sub_f32_e32 v70, v72, v107
	v_add_f32_e32 v72, v107, v72
	v_sub_f32_e32 v74, v93, v111
	v_sub_f32_e32 v92, v112, v110
	v_add_f32_e32 v93, v109, v114
	v_sub_f32_e32 v107, v96, v86
	v_sub_f32_e32 v108, v106, v97
	;; [unrolled: 1-line block ×6, first 2 shown]
	v_add_f32_e32 v109, v100, v95
	v_add_f32_e32 v110, v101, v99
	v_sub_f32_e32 v111, v100, v95
	v_sub_f32_e32 v112, v101, v99
	v_add_f32_e32 v53, v53, v103
	v_mov_b32_e32 v113, v52
	v_sub_f32_e32 v100, v94, v100
	v_sub_f32_e32 v101, v85, v101
	;; [unrolled: 1-line block ×4, first 2 shown]
	v_add_f32_e32 v94, v109, v94
	v_add_f32_e32 v85, v110, v85
	v_mul_f32_e32 v86, 0x3f4a47b2, v86
	v_mul_f32_e32 v97, 0x3f4a47b2, v97
	;; [unrolled: 1-line block ×6, first 2 shown]
	v_fmac_f32_e32 v113, 0xbf955555, v102
	v_mov_b32_e32 v102, v53
	v_mul_f32_e32 v111, 0x3f5ff5aa, v95
	v_mul_f32_e32 v112, 0x3f5ff5aa, v99
	v_fmac_f32_e32 v102, 0xbf955555, v103
	v_fma_f32 v103, v107, s15, -v104
	v_fma_f32 v104, v108, s15, -v105
	;; [unrolled: 1-line block ×3, first 2 shown]
	v_fmac_f32_e32 v86, 0x3d64c772, v96
	v_fma_f32 v96, v108, s16, -v97
	v_fmac_f32_e32 v97, 0x3d64c772, v106
	v_fma_f32 v106, v95, s14, -v109
	;; [unrolled: 2-line block ×4, first 2 shown]
	v_fma_f32 v111, v101, s18, -v112
	v_add_f32_e32 v86, v86, v113
	v_add_f32_e32 v112, v97, v102
	v_fmac_f32_e32 v109, 0x3ee1c552, v94
	v_fmac_f32_e32 v110, 0x3ee1c552, v85
	v_add_f32_e32 v101, v103, v113
	v_add_f32_e32 v103, v104, v102
	;; [unrolled: 1-line block ×4, first 2 shown]
	v_fmac_f32_e32 v106, 0x3ee1c552, v94
	v_fmac_f32_e32 v107, 0x3ee1c552, v85
	;; [unrolled: 1-line block ×4, first 2 shown]
	v_add_f32_e32 v94, v110, v86
	v_sub_f32_e32 v95, v112, v109
	ds_write2_b64 v175, v[48:49], v[54:55] offset1:52
	ds_write2_b64 v175, v[56:57], v[58:59] offset0:104 offset1:156
	ds_write2_b64 v90, v[60:61], v[62:63] offset0:80 offset1:132
	;; [unrolled: 1-line block ×6, first 2 shown]
	v_add_u32_e32 v48, 0x1400, v199
	v_add_f32_e32 v96, v111, v104
	v_sub_f32_e32 v97, v105, v108
	v_sub_f32_e32 v99, v101, v107
	v_add_f32_e32 v100, v106, v103
	ds_write2_b64 v48, v[52:53], v[94:95] offset0:88 offset1:140
	v_add_u32_e32 v48, 0x1800, v199
	v_add_f32_e32 v101, v107, v101
	v_sub_f32_e32 v102, v103, v106
	v_sub_f32_e32 v103, v104, v111
	v_add_f32_e32 v104, v108, v105
	v_sub_f32_e32 v105, v86, v110
	v_add_f32_e32 v106, v109, v112
	ds_write2_b64 v48, v[96:97], v[99:100] offset0:64 offset1:116
	ds_write2_b64 v48, v[101:102], v[103:104] offset0:168 offset1:220
	ds_write_b64 v199, v[105:106] offset:8320
	s_waitcnt lgkmcnt(0)
	; wave barrier
	s_waitcnt lgkmcnt(0)
	global_load_dwordx4 v[48:51], v179, s[4:5] offset:2896
	v_lshlrev_b32_e32 v52, 3, v177
	global_load_dwordx4 v[52:55], v52, s[4:5] offset:2896
	v_lshlrev_b32_e32 v56, 3, v87
	global_load_dwordx4 v[56:59], v56, s[4:5] offset:2896
	s_nop 0
	global_load_dwordx4 v[60:63], v201, s[4:5] offset:2896
	global_load_dwordx4 v[64:67], v198, s[4:5] offset:2896
	;; [unrolled: 1-line block ×4, first 2 shown]
	v_addc_co_u32_e64 v125, vcc, 0, v84, s[6:7]
	ds_read2_b64 v[92:95], v175 offset1:52
	ds_read2_b64 v[84:87], v88 offset0:56 offset1:108
	ds_read2_b64 v[99:102], v89 offset0:88 offset1:140
	;; [unrolled: 1-line block ×9, first 2 shown]
	ds_read_b64 v[96:97], v175 offset:8320
	s_movk_i32 s4, 0x2000
	s_waitcnt vmcnt(6) lgkmcnt(9)
	v_mul_f32_e32 v123, v87, v49
	v_fma_f32 v123, v86, v48, -v123
	v_mul_f32_e32 v124, v86, v49
	s_waitcnt lgkmcnt(8)
	v_mul_f32_e32 v86, v100, v51
	v_fma_f32 v128, v99, v50, -v86
	s_waitcnt vmcnt(5) lgkmcnt(7)
	v_mul_f32_e32 v86, v104, v53
	v_fma_f32 v129, v103, v52, -v86
	v_mul_f32_e32 v103, v103, v53
	v_mul_f32_e32 v86, v102, v55
	v_fmac_f32_e32 v103, v104, v52
	v_fma_f32 v104, v101, v54, -v86
	s_waitcnt vmcnt(4)
	v_mul_f32_e32 v86, v106, v57
	v_fma_f32 v174, v105, v56, -v86
	s_waitcnt lgkmcnt(5)
	v_mul_f32_e32 v86, v112, v59
	v_fma_f32 v179, v111, v58, -v86
	s_waitcnt vmcnt(3) lgkmcnt(4)
	v_mul_f32_e32 v86, v116, v61
	v_fma_f32 v180, v115, v60, -v86
	v_mul_f32_e32 v115, v115, v61
	v_mul_f32_e32 v86, v114, v63
	v_fmac_f32_e32 v115, v116, v60
	v_fma_f32 v116, v113, v62, -v86
	s_waitcnt vmcnt(2)
	v_mul_f32_e32 v86, v118, v65
	v_fma_f32 v182, v117, v64, -v86
	s_waitcnt lgkmcnt(2)
	v_mul_f32_e32 v86, v203, v67
	v_fma_f32 v184, v202, v66, -v86
	s_waitcnt vmcnt(1) lgkmcnt(1)
	v_mul_f32_e32 v86, v207, v69
	v_fma_f32 v185, v206, v68, -v86
	v_mul_f32_e32 v86, v205, v71
	v_fma_f32 v187, v204, v70, -v86
	s_waitcnt vmcnt(0)
	v_mul_f32_e32 v86, v209, v73
	v_fmac_f32_e32 v124, v87, v48
	v_mul_f32_e32 v99, v99, v51
	v_fma_f32 v189, v208, v72, -v86
	s_waitcnt lgkmcnt(0)
	v_mul_f32_e32 v86, v97, v75
	v_add_f32_e32 v87, v123, v128
	v_fmac_f32_e32 v99, v100, v50
	v_fma_f32 v191, v96, v74, -v86
	v_mul_f32_e32 v192, v96, v75
	v_add_f32_e32 v86, v92, v123
	v_fma_f32 v92, -0.5, v87, v92
	v_fmac_f32_e32 v192, v97, v74
	v_sub_f32_e32 v87, v124, v99
	v_mov_b32_e32 v96, v92
	v_add_f32_e32 v97, v124, v99
	v_fmac_f32_e32 v96, 0x3f5db3d7, v87
	v_fmac_f32_e32 v92, 0xbf5db3d7, v87
	v_add_f32_e32 v87, v93, v124
	v_fma_f32 v93, -0.5, v97, v93
	v_mul_f32_e32 v162, v101, v55
	v_add_f32_e32 v87, v87, v99
	v_sub_f32_e32 v99, v123, v128
	v_mov_b32_e32 v97, v93
	v_add_f32_e32 v100, v129, v104
	v_fmac_f32_e32 v162, v102, v54
	v_fmac_f32_e32 v97, 0xbf5db3d7, v99
	;; [unrolled: 1-line block ×3, first 2 shown]
	v_add_f32_e32 v99, v94, v129
	v_fma_f32 v94, -0.5, v100, v94
	v_mul_f32_e32 v177, v105, v57
	v_sub_f32_e32 v100, v103, v162
	v_mov_b32_e32 v101, v94
	v_add_f32_e32 v102, v103, v162
	v_fmac_f32_e32 v177, v106, v56
	v_mul_f32_e32 v106, v111, v59
	v_add_f32_e32 v99, v99, v104
	v_fmac_f32_e32 v101, 0x3f5db3d7, v100
	v_fmac_f32_e32 v94, 0xbf5db3d7, v100
	v_add_f32_e32 v100, v95, v103
	v_fmac_f32_e32 v95, -0.5, v102
	v_sub_f32_e32 v103, v129, v104
	v_add_f32_e32 v104, v174, v179
	v_fmac_f32_e32 v106, v112, v58
	v_mov_b32_e32 v102, v95
	v_fma_f32 v105, -0.5, v104, v107
	v_fmac_f32_e32 v102, 0xbf5db3d7, v103
	v_fmac_f32_e32 v95, 0x3f5db3d7, v103
	v_add_f32_e32 v103, v107, v174
	v_sub_f32_e32 v104, v177, v106
	v_mov_b32_e32 v107, v105
	v_fmac_f32_e32 v107, 0x3f5db3d7, v104
	v_fmac_f32_e32 v105, 0xbf5db3d7, v104
	v_add_f32_e32 v104, v108, v177
	v_add_f32_e32 v104, v104, v106
	;; [unrolled: 1-line block ×3, first 2 shown]
	v_fma_f32 v106, -0.5, v106, v108
	v_mul_f32_e32 v181, v113, v63
	v_sub_f32_e32 v111, v174, v179
	v_mov_b32_e32 v108, v106
	v_add_f32_e32 v112, v180, v116
	v_fmac_f32_e32 v181, v114, v62
	v_fmac_f32_e32 v108, 0xbf5db3d7, v111
	;; [unrolled: 1-line block ×3, first 2 shown]
	v_add_f32_e32 v111, v109, v180
	v_fma_f32 v109, -0.5, v112, v109
	v_mul_f32_e32 v183, v117, v65
	v_sub_f32_e32 v112, v115, v181
	v_mov_b32_e32 v113, v109
	v_add_f32_e32 v114, v115, v181
	v_fmac_f32_e32 v183, v118, v64
	v_mul_f32_e32 v118, v202, v67
	v_add_f32_e32 v111, v111, v116
	v_fmac_f32_e32 v113, 0x3f5db3d7, v112
	v_fmac_f32_e32 v109, 0xbf5db3d7, v112
	v_add_f32_e32 v112, v110, v115
	v_fmac_f32_e32 v110, -0.5, v114
	v_sub_f32_e32 v115, v180, v116
	v_add_f32_e32 v116, v182, v184
	v_fmac_f32_e32 v118, v203, v66
	v_mov_b32_e32 v114, v110
	v_fma_f32 v117, -0.5, v116, v119
	v_fmac_f32_e32 v114, 0xbf5db3d7, v115
	v_fmac_f32_e32 v110, 0x3f5db3d7, v115
	v_add_f32_e32 v115, v119, v182
	v_sub_f32_e32 v116, v183, v118
	v_mov_b32_e32 v119, v117
	v_fmac_f32_e32 v119, 0x3f5db3d7, v116
	v_fmac_f32_e32 v117, 0xbf5db3d7, v116
	v_add_f32_e32 v116, v120, v183
	v_add_f32_e32 v116, v116, v118
	;; [unrolled: 1-line block ×3, first 2 shown]
	v_fma_f32 v118, -0.5, v118, v120
	v_mul_f32_e32 v186, v206, v69
	v_mul_f32_e32 v188, v204, v71
	v_sub_f32_e32 v123, v182, v184
	v_mov_b32_e32 v120, v118
	v_add_f32_e32 v124, v185, v187
	v_fmac_f32_e32 v186, v207, v68
	v_fmac_f32_e32 v188, v205, v70
	;; [unrolled: 1-line block ×4, first 2 shown]
	v_add_f32_e32 v123, v121, v185
	v_fma_f32 v121, -0.5, v124, v121
	v_add_f32_e32 v86, v86, v128
	v_sub_f32_e32 v124, v186, v188
	v_mov_b32_e32 v202, v121
	v_add_f32_e32 v128, v186, v188
	v_fmac_f32_e32 v202, 0x3f5db3d7, v124
	v_fmac_f32_e32 v121, 0xbf5db3d7, v124
	v_add_f32_e32 v124, v122, v186
	v_fmac_f32_e32 v122, -0.5, v128
	v_sub_f32_e32 v128, v185, v187
	v_mov_b32_e32 v203, v122
	v_fmac_f32_e32 v203, 0xbf5db3d7, v128
	v_fmac_f32_e32 v122, 0x3f5db3d7, v128
	v_add_f32_e32 v128, v84, v189
	v_mul_f32_e32 v190, v208, v73
	v_add_f32_e32 v204, v128, v191
	v_add_f32_e32 v128, v189, v191
	v_fmac_f32_e32 v190, v209, v72
	v_fma_f32 v84, -0.5, v128, v84
	v_sub_f32_e32 v128, v190, v192
	v_mov_b32_e32 v206, v84
	v_fmac_f32_e32 v206, 0x3f5db3d7, v128
	v_fmac_f32_e32 v84, 0xbf5db3d7, v128
	v_add_f32_e32 v128, v85, v190
	v_add_f32_e32 v205, v128, v192
	;; [unrolled: 1-line block ×3, first 2 shown]
	v_fmac_f32_e32 v85, -0.5, v128
	v_sub_f32_e32 v128, v189, v191
	v_mov_b32_e32 v207, v85
	v_add_f32_e32 v100, v100, v162
	v_add_f32_e32 v103, v103, v179
	;; [unrolled: 1-line block ×6, first 2 shown]
	v_fmac_f32_e32 v207, 0xbf5db3d7, v128
	v_fmac_f32_e32 v85, 0x3f5db3d7, v128
	ds_write_b64 v175, v[96:97] offset:2912
	ds_write_b64 v175, v[92:93] offset:5824
	ds_write2_b64 v175, v[86:87], v[99:100] offset1:52
	ds_write2_b64 v88, v[101:102], v[107:108] offset0:160 offset1:212
	ds_write2_b64 v98, v[94:95], v[105:106] offset0:12 offset1:64
	;; [unrolled: 1-line block ×3, first 2 shown]
	ds_write_b64 v175, v[109:110] offset:7072
	ds_write2_b64 v91, v[113:114], v[119:120] offset0:8 offset1:60
	ds_write2_b64 v90, v[115:116], v[123:124] offset0:80 offset1:132
	ds_write2_b64 v98, v[117:118], v[121:122] offset0:168 offset1:220
	ds_write_b64 v175, v[204:205] offset:2496
	ds_write2_b64 v91, v[202:203], v[206:207] offset0:112 offset1:164
	ds_write_b64 v175, v[84:85] offset:8320
	v_add_co_u32_e32 v86, vcc, s4, v173
	v_addc_co_u32_e32 v87, vcc, 0, v125, vcc
	s_waitcnt lgkmcnt(0)
	; wave barrier
	s_waitcnt lgkmcnt(0)
	global_load_dwordx2 v[96:97], v[86:87], off offset:544
	s_movk_i32 s4, 0x3000
	v_add_co_u32_e32 v103, vcc, s4, v173
	v_addc_co_u32_e32 v104, vcc, 0, v125, vcc
	global_load_dwordx2 v[105:106], v[103:104], off offset:816
	s_movk_i32 s4, 0x2220
	v_add_co_u32_e32 v86, vcc, s4, v173
	v_addc_co_u32_e32 v87, vcc, 0, v125, vcc
	global_load_dwordx2 v[107:108], v[86:87], off offset:416
	global_load_dwordx2 v[109:110], v[103:104], off offset:1232
	;; [unrolled: 1-line block ×11, first 2 shown]
	ds_read2_b64 v[92:95], v175 offset1:52
	global_load_dwordx2 v[206:207], v[103:104], off offset:3312
	global_load_dwordx2 v[208:209], v[86:87], off offset:3744
	;; [unrolled: 1-line block ×3, first 2 shown]
	s_movk_i32 s4, 0x4000
	v_add_co_u32_e32 v212, vcc, s4, v173
	v_addc_co_u32_e32 v213, vcc, 0, v125, vcc
	global_load_dwordx2 v[214:215], v[212:213], off offset:48
	s_waitcnt vmcnt(16) lgkmcnt(0)
	v_mul_f32_e32 v99, v93, v97
	v_mul_f32_e32 v100, v92, v97
	v_fma_f32 v99, v92, v96, -v99
	v_fmac_f32_e32 v100, v93, v96
	global_load_dwordx2 v[96:97], v[103:104], off offset:3728
	ds_write_b64 v175, v[99:100]
	global_load_dwordx2 v[103:104], v[86:87], off offset:3328
	ds_read2_b64 v[99:102], v91 offset0:34 offset1:86
	global_load_dwordx2 v[212:213], v[212:213], off offset:464
	s_waitcnt vmcnt(18) lgkmcnt(0)
	v_mul_f32_e32 v92, v100, v106
	v_fma_f32 v216, v99, v105, -v92
	v_mul_f32_e32 v217, v99, v106
	s_waitcnt vmcnt(17)
	v_mul_f32_e32 v92, v95, v108
	v_mul_f32_e32 v106, v94, v108
	v_fmac_f32_e32 v217, v100, v105
	v_fma_f32 v105, v94, v107, -v92
	v_fmac_f32_e32 v106, v95, v107
	s_waitcnt vmcnt(16)
	v_mul_f32_e32 v99, v102, v110
	ds_read2_b64 v[92:95], v175 offset0:104 offset1:156
	v_mul_f32_e32 v108, v101, v110
	v_fma_f32 v107, v101, v109, -v99
	v_fmac_f32_e32 v108, v102, v109
	ds_read2_b64 v[99:102], v91 offset0:138 offset1:190
	s_waitcnt vmcnt(15) lgkmcnt(1)
	v_mul_f32_e32 v109, v93, v112
	v_mul_f32_e32 v110, v92, v112
	v_fma_f32 v109, v92, v111, -v109
	v_fmac_f32_e32 v110, v93, v111
	s_waitcnt vmcnt(14) lgkmcnt(0)
	v_mul_f32_e32 v92, v100, v114
	v_mul_f32_e32 v93, v99, v114
	v_fma_f32 v92, v99, v113, -v92
	v_fmac_f32_e32 v93, v100, v113
	ds_write2_b64 v175, v[105:106], v[109:110] offset0:52 offset1:104
	ds_write2_b64 v91, v[107:108], v[92:93] offset0:86 offset1:138
	s_waitcnt vmcnt(13)
	v_mul_f32_e32 v92, v95, v116
	v_mul_f32_e32 v106, v94, v116
	v_fma_f32 v105, v94, v115, -v92
	v_fmac_f32_e32 v106, v95, v115
	ds_read2_b64 v[92:95], v90 offset0:80 offset1:132
	s_waitcnt vmcnt(12)
	v_mul_f32_e32 v99, v102, v118
	v_mul_f32_e32 v108, v101, v118
	v_fma_f32 v107, v101, v117, -v99
	v_fmac_f32_e32 v108, v102, v117
	ds_read2_b64 v[99:102], v89 offset0:114 offset1:166
	s_waitcnt vmcnt(11) lgkmcnt(1)
	v_mul_f32_e32 v109, v93, v120
	v_mul_f32_e32 v110, v92, v120
	v_fma_f32 v109, v92, v119, -v109
	v_fmac_f32_e32 v110, v93, v119
	s_waitcnt vmcnt(10) lgkmcnt(0)
	v_mul_f32_e32 v92, v100, v122
	v_mul_f32_e32 v93, v99, v122
	v_fma_f32 v92, v99, v121, -v92
	v_fmac_f32_e32 v93, v100, v121
	ds_write2_b64 v175, v[105:106], v[109:110] offset0:156 offset1:208
	ds_write2_b64 v91, v[107:108], v[92:93] offset0:190 offset1:242
	s_waitcnt vmcnt(9)
	v_mul_f32_e32 v92, v95, v124
	v_mul_f32_e32 v106, v94, v124
	v_fma_f32 v105, v94, v123, -v92
	v_fmac_f32_e32 v106, v95, v123
	ds_read2_b64 v[92:95], v88 offset0:56 offset1:108
	s_waitcnt vmcnt(8)
	v_mul_f32_e32 v99, v102, v203
	;; [unrolled: 24-line block ×3, first 2 shown]
	v_mul_f32_e32 v108, v101, v97
	v_fma_f32 v107, v101, v96, -v99
	v_fmac_f32_e32 v108, v102, v96
	ds_read2_b64 v[99:102], v98 offset0:194 offset1:246
	s_waitcnt vmcnt(1) lgkmcnt(1)
	v_mul_f32_e32 v96, v93, v104
	v_mul_f32_e32 v97, v92, v104
	v_fma_f32 v96, v92, v103, -v96
	v_fmac_f32_e32 v97, v93, v103
	s_waitcnt lgkmcnt(0)
	v_mul_f32_e32 v92, v100, v215
	v_mul_f32_e32 v93, v99, v215
	v_fma_f32 v92, v99, v214, -v92
	v_fmac_f32_e32 v93, v100, v214
	ds_write2_b64 v98, v[107:108], v[92:93] offset0:142 offset1:194
	v_mul_f32_e32 v92, v95, v209
	v_mul_f32_e32 v93, v94, v209
	v_fma_f32 v92, v94, v208, -v92
	v_fmac_f32_e32 v93, v95, v208
	v_add_u32_e32 v94, 0xc00, v175
	ds_write2_b64 v94, v[92:93], v[216:217] offset0:84 offset1:162
	s_waitcnt vmcnt(0)
	v_mul_f32_e32 v92, v102, v213
	v_mul_f32_e32 v93, v101, v213
	v_fma_f32 v92, v101, v212, -v92
	v_fmac_f32_e32 v93, v102, v212
	ds_write2_b64 v88, v[105:106], v[96:97] offset0:108 offset1:160
	ds_write_b64 v175, v[92:93] offset:8112
	s_and_saveexec_b64 s[4:5], s[0:1]
	s_cbranch_execz .LBB0_17
; %bb.16:
	v_add_co_u32_e32 v92, vcc, 0x1000, v86
	v_addc_co_u32_e32 v93, vcc, 0, v87, vcc
	v_add_co_u32_e32 v86, vcc, 0x2000, v86
	global_load_dwordx2 v[92:93], v[92:93], off offset:64
	v_addc_co_u32_e32 v87, vcc, 0, v87, vcc
	global_load_dwordx2 v[86:87], v[86:87], off offset:336
	ds_read_b64 v[94:95], v175 offset:4160
	ds_read_b64 v[96:97], v175 offset:8528
	s_waitcnt vmcnt(1) lgkmcnt(1)
	v_mul_f32_e32 v99, v95, v93
	v_mul_f32_e32 v100, v94, v93
	v_fma_f32 v99, v94, v92, -v99
	v_fmac_f32_e32 v100, v95, v92
	s_waitcnt vmcnt(0) lgkmcnt(0)
	v_mul_f32_e32 v92, v97, v87
	v_mul_f32_e32 v93, v96, v87
	v_fma_f32 v92, v96, v86, -v92
	v_fmac_f32_e32 v93, v97, v86
	ds_write_b64 v175, v[99:100] offset:4160
	ds_write_b64 v175, v[92:93] offset:8528
.LBB0_17:
	s_or_b64 exec, exec, s[4:5]
	s_waitcnt lgkmcnt(0)
	; wave barrier
	s_waitcnt lgkmcnt(0)
	ds_read2_b64 v[110:113], v175 offset1:52
	ds_read2_b64 v[122:125], v91 offset0:34 offset1:86
	ds_read2_b64 v[102:105], v175 offset0:104 offset1:156
	;; [unrolled: 1-line block ×9, first 2 shown]
	v_lshlrev_b32_e32 v202, 3, v196
	v_lshlrev_b32_e32 v197, 3, v197
	v_lshlrev_b32_e32 v196, 3, v242
	s_and_saveexec_b64 s[4:5], s[0:1]
	s_cbranch_execz .LBB0_19
; %bb.18:
	ds_read_b64 v[84:85], v175 offset:4160
	ds_read_b64 v[126:127], v175 offset:8528
.LBB0_19:
	s_or_b64 exec, exec, s[4:5]
	s_waitcnt lgkmcnt(8)
	v_sub_f32_e32 v124, v112, v124
	v_sub_f32_e32 v125, v113, v125
	s_waitcnt lgkmcnt(6)
	v_sub_f32_e32 v120, v104, v120
	v_sub_f32_e32 v121, v105, v121
	;; [unrolled: 3-line block ×4, first 2 shown]
	v_sub_f32_e32 v205, v110, v122
	v_sub_f32_e32 v206, v111, v123
	v_fma_f32 v122, v112, 2.0, -v124
	v_fma_f32 v123, v113, 2.0, -v125
	v_sub_f32_e32 v112, v102, v118
	v_sub_f32_e32 v113, v103, v119
	v_fma_f32 v118, v104, 2.0, -v120
	v_fma_f32 v119, v105, 2.0, -v121
	;; [unrolled: 4-line block ×4, first 2 shown]
	s_waitcnt lgkmcnt(0)
	v_sub_f32_e32 v92, v84, v126
	v_sub_f32_e32 v93, v85, v127
	v_fma_f32 v203, v110, 2.0, -v205
	v_fma_f32 v204, v111, 2.0, -v206
	;; [unrolled: 1-line block ×8, first 2 shown]
	v_sub_f32_e32 v209, v86, v98
	v_sub_f32_e32 v210, v87, v99
	;; [unrolled: 1-line block ×4, first 2 shown]
	v_fma_f32 v90, v84, 2.0, -v92
	v_fma_f32 v91, v85, 2.0, -v93
	;; [unrolled: 1-line block ×6, first 2 shown]
	s_waitcnt lgkmcnt(0)
	; wave barrier
	ds_write_b128 v193, v[203:206]
	ds_write_b128 v194, v[122:125]
	;; [unrolled: 1-line block ×10, first 2 shown]
	s_and_saveexec_b64 s[4:5], s[0:1]
	s_cbranch_execz .LBB0_21
; %bb.20:
	ds_write_b128 v228, v[90:93]
.LBB0_21:
	s_or_b64 exec, exec, s[4:5]
	v_add_u32_e32 v84, 0x1000, v175
	v_add_u32_e32 v88, 0x1400, v175
	s_waitcnt lgkmcnt(0)
	; wave barrier
	s_waitcnt lgkmcnt(0)
	ds_read2_b64 v[106:109], v175 offset1:52
	ds_read2_b64 v[126:129], v84 offset0:34 offset1:86
	ds_read2_b64 v[94:97], v175 offset0:104 offset1:156
	;; [unrolled: 1-line block ×3, first 2 shown]
	v_add_u32_e32 v84, 0x400, v175
	ds_read2_b64 v[118:121], v88 offset0:114 offset1:166
	v_add_u32_e32 v88, 0x800, v175
	v_add_u32_e32 v89, 0x1800, v175
	ds_read2_b64 v[84:87], v84 offset0:80 offset1:132
	ds_read2_b64 v[102:105], v88 offset0:56 offset1:108
	;; [unrolled: 1-line block ×5, first 2 shown]
	s_and_saveexec_b64 s[4:5], s[0:1]
	s_cbranch_execz .LBB0_23
; %bb.22:
	ds_read_b64 v[90:91], v175 offset:4160
	ds_read_b64 v[92:93], v175 offset:8528
.LBB0_23:
	s_or_b64 exec, exec, s[4:5]
	s_waitcnt lgkmcnt(8)
	v_mul_f32_e32 v88, v81, v127
	v_fmac_f32_e32 v88, v80, v126
	v_mul_f32_e32 v89, v81, v126
	v_mul_f32_e32 v126, v81, v129
	v_fma_f32 v89, v80, v127, -v89
	v_fmac_f32_e32 v126, v80, v128
	v_mul_f32_e32 v127, v81, v128
	s_waitcnt lgkmcnt(6)
	v_mul_f32_e32 v128, v81, v123
	v_fmac_f32_e32 v128, v80, v122
	v_mul_f32_e32 v122, v81, v122
	v_fma_f32 v122, v80, v123, -v122
	v_mul_f32_e32 v123, v81, v125
	v_fmac_f32_e32 v123, v80, v124
	v_mul_f32_e32 v124, v81, v124
	v_fma_f32 v124, v80, v125, -v124
	s_waitcnt lgkmcnt(5)
	v_mul_f32_e32 v125, v81, v119
	s_waitcnt lgkmcnt(2)
	v_mul_f32_e32 v177, v81, v115
	;; [unrolled: 2-line block ×3, first 2 shown]
	v_fmac_f32_e32 v125, v80, v118
	v_mul_f32_e32 v118, v81, v118
	v_fmac_f32_e32 v177, v80, v114
	v_mul_f32_e32 v114, v81, v114
	;; [unrolled: 2-line block ×3, first 2 shown]
	v_fma_f32 v127, v80, v129, -v127
	v_fma_f32 v129, v80, v119, -v118
	v_mul_f32_e32 v162, v81, v121
	v_mul_f32_e32 v118, v81, v120
	v_fma_f32 v179, v80, v115, -v114
	v_mul_f32_e32 v180, v81, v117
	v_mul_f32_e32 v114, v81, v116
	;; [unrolled: 3-line block ×3, first 2 shown]
	v_mul_f32_e32 v186, v81, v93
	v_mul_f32_e32 v81, v81, v92
	v_fmac_f32_e32 v162, v80, v120
	v_fma_f32 v174, v80, v121, -v118
	v_fmac_f32_e32 v180, v80, v116
	v_fma_f32 v181, v80, v117, -v114
	;; [unrolled: 2-line block ×4, first 2 shown]
	v_sub_f32_e32 v118, v96, v123
	v_sub_f32_e32 v119, v97, v124
	;; [unrolled: 1-line block ×8, first 2 shown]
	v_fma_f32 v120, v96, 2.0, -v118
	v_fma_f32 v121, v97, 2.0, -v119
	v_sub_f32_e32 v122, v84, v125
	v_sub_f32_e32 v123, v85, v129
	;; [unrolled: 1-line block ×12, first 2 shown]
	v_fma_f32 v106, v106, 2.0, -v110
	v_fma_f32 v107, v107, 2.0, -v111
	;; [unrolled: 1-line block ×8, first 2 shown]
	v_sub_f32_e32 v84, v102, v177
	v_sub_f32_e32 v85, v103, v179
	v_fma_f32 v86, v104, 2.0, -v96
	v_fma_f32 v87, v105, 2.0, -v97
	;; [unrolled: 1-line block ×12, first 2 shown]
	s_waitcnt lgkmcnt(0)
	; wave barrier
	ds_write2_b64 v231, v[106:107], v[110:111] offset1:2
	ds_write2_b64 v232, v[108:109], v[112:113] offset1:2
	;; [unrolled: 1-line block ×10, first 2 shown]
	s_and_saveexec_b64 s[4:5], s[0:1]
	s_cbranch_execz .LBB0_25
; %bb.24:
	s_movk_i32 s6, 0x47c
	v_and_or_b32 v100, v240, s6, v178
	v_lshlrev_b32_e32 v100, 3, v100
	ds_write2_b64 v100, v[90:91], v[80:81] offset1:2
.LBB0_25:
	s_or_b64 exec, exec, s[4:5]
	v_add_u32_e32 v127, 0x800, v175
	v_add_u32_e32 v104, 0xc00, v175
	;; [unrolled: 1-line block ×4, first 2 shown]
	s_waitcnt lgkmcnt(0)
	; wave barrier
	s_waitcnt lgkmcnt(0)
	ds_read2_b64 v[100:103], v175 offset1:84
	ds_read2_b64 v[120:123], v175 offset0:168 offset1:252
	ds_read2_b64 v[116:119], v127 offset0:80 offset1:164
	;; [unrolled: 1-line block ×5, first 2 shown]
	ds_read_b64 v[124:125], v175 offset:8064
	s_and_saveexec_b64 s[4:5], s[2:3]
	s_cbranch_execz .LBB0_27
; %bb.26:
	v_add_u32_e32 v76, 0x400, v175
	ds_read2_b64 v[84:87], v175 offset0:52 offset1:136
	ds_read2_b64 v[96:99], v76 offset0:92 offset1:176
	;; [unrolled: 1-line block ×4, first 2 shown]
	v_add_u32_e32 v76, 0x1400, v175
	ds_read2_b64 v[80:83], v76 offset0:84 offset1:168
	ds_read2_b64 v[76:79], v126 offset0:124 offset1:208
	ds_read_b64 v[171:172], v175 offset:8480
.LBB0_27:
	s_or_b64 exec, exec, s[4:5]
	s_waitcnt lgkmcnt(6)
	v_mul_f32_e32 v126, v13, v103
	v_fmac_f32_e32 v126, v12, v102
	v_mul_f32_e32 v102, v13, v102
	v_fma_f32 v127, v12, v103, -v102
	s_waitcnt lgkmcnt(5)
	v_mul_f32_e32 v128, v15, v121
	v_mul_f32_e32 v102, v15, v120
	v_fmac_f32_e32 v128, v14, v120
	v_fma_f32 v120, v14, v121, -v102
	v_mul_f32_e32 v121, v9, v123
	v_mul_f32_e32 v102, v9, v122
	v_fmac_f32_e32 v121, v8, v122
	v_fma_f32 v122, v8, v123, -v102
	s_waitcnt lgkmcnt(4)
	v_mul_f32_e32 v123, v11, v117
	v_mul_f32_e32 v102, v11, v116
	v_fmac_f32_e32 v123, v10, v116
	v_fma_f32 v116, v10, v117, -v102
	v_mul_f32_e32 v117, v1, v119
	v_mul_f32_e32 v102, v1, v118
	v_fmac_f32_e32 v117, v0, v118
	;; [unrolled: 9-line block ×5, first 2 shown]
	v_fma_f32 v106, v20, v107, -v102
	s_waitcnt lgkmcnt(0)
	v_mul_f32_e32 v107, v23, v125
	v_mul_f32_e32 v102, v23, v124
	v_add_f32_e32 v103, v101, v127
	v_fmac_f32_e32 v107, v22, v124
	v_fma_f32 v124, v22, v125, -v102
	v_add_f32_e32 v102, v100, v126
	v_add_f32_e32 v103, v103, v120
	;; [unrolled: 1-line block ×23, first 2 shown]
	v_sub_f32_e32 v124, v127, v124
	v_add_f32_e32 v102, v102, v107
	v_add_f32_e32 v125, v126, v107
	v_sub_f32_e32 v107, v126, v107
	v_mul_f32_e32 v126, 0xbeedf032, v124
	v_mul_f32_e32 v177, 0xbf52af12, v124
	;; [unrolled: 1-line block ×6, first 2 shown]
	s_mov_b32 s6, 0x3f62ad3f
	v_mov_b32_e32 v127, v126
	s_mov_b32 s7, 0x3f116cb1
	v_mov_b32_e32 v178, v177
	;; [unrolled: 2-line block ×6, first 2 shown]
	v_fmac_f32_e32 v127, 0x3f62ad3f, v125
	v_fma_f32 v126, v125, s6, -v126
	v_fmac_f32_e32 v178, 0x3f116cb1, v125
	v_fma_f32 v177, v125, s7, -v177
	;; [unrolled: 2-line block ×6, first 2 shown]
	v_add_f32_e32 v127, v100, v127
	v_mul_f32_e32 v162, 0x3f62ad3f, v129
	v_add_f32_e32 v126, v100, v126
	v_add_f32_e32 v178, v100, v178
	v_mul_f32_e32 v179, 0x3f116cb1, v129
	v_add_f32_e32 v177, v100, v177
	;; [unrolled: 3-line block ×6, first 2 shown]
	v_add_f32_e32 v124, v120, v106
	v_sub_f32_e32 v106, v120, v106
	v_mov_b32_e32 v174, v162
	v_mov_b32_e32 v180, v179
	;; [unrolled: 1-line block ×6, first 2 shown]
	v_mul_f32_e32 v120, 0xbf52af12, v106
	v_fmac_f32_e32 v174, 0x3eedf032, v107
	v_fmac_f32_e32 v162, 0xbeedf032, v107
	;; [unrolled: 1-line block ×12, first 2 shown]
	v_add_f32_e32 v107, v128, v105
	v_mov_b32_e32 v125, v120
	v_fmac_f32_e32 v125, 0x3f116cb1, v107
	v_sub_f32_e32 v105, v128, v105
	v_add_f32_e32 v125, v125, v127
	v_mul_f32_e32 v127, 0x3f116cb1, v124
	v_add_f32_e32 v162, v101, v162
	v_mov_b32_e32 v128, v127
	v_fma_f32 v120, v107, s7, -v120
	v_fmac_f32_e32 v127, 0xbf52af12, v105
	v_add_f32_e32 v120, v120, v126
	v_add_f32_e32 v126, v127, v162
	v_mul_f32_e32 v127, 0xbf6f5d39, v106
	v_add_f32_e32 v174, v101, v174
	v_add_f32_e32 v180, v101, v180
	v_add_f32_e32 v179, v101, v179
	v_add_f32_e32 v184, v101, v184
	v_add_f32_e32 v183, v101, v183
	v_add_f32_e32 v188, v101, v188
	v_add_f32_e32 v187, v101, v187
	v_add_f32_e32 v192, v101, v192
	v_add_f32_e32 v191, v101, v191
	v_add_f32_e32 v194, v101, v194
	v_add_f32_e32 v101, v101, v129
	v_mov_b32_e32 v129, v127
	v_fma_f32 v127, v107, s15, -v127
	v_fmac_f32_e32 v128, 0x3f52af12, v105
	v_fmac_f32_e32 v129, 0xbeb58ec6, v107
	v_mul_f32_e32 v162, 0xbeb58ec6, v124
	v_add_f32_e32 v127, v127, v177
	v_mul_f32_e32 v177, 0xbe750f2a, v106
	v_add_f32_e32 v128, v128, v174
	v_add_f32_e32 v129, v129, v178
	v_mov_b32_e32 v174, v162
	v_fmac_f32_e32 v162, 0xbf6f5d39, v105
	v_mov_b32_e32 v178, v177
	v_fma_f32 v177, v107, s17, -v177
	v_fmac_f32_e32 v174, 0x3f6f5d39, v105
	v_add_f32_e32 v162, v162, v179
	v_fmac_f32_e32 v178, 0xbf788fa5, v107
	v_mul_f32_e32 v179, 0xbf788fa5, v124
	v_add_f32_e32 v177, v177, v181
	v_mul_f32_e32 v181, 0x3f29c268, v106
	v_add_f32_e32 v174, v174, v180
	v_add_f32_e32 v178, v178, v182
	v_mov_b32_e32 v180, v179
	v_fmac_f32_e32 v179, 0xbe750f2a, v105
	v_mov_b32_e32 v182, v181
	v_fma_f32 v181, v107, s16, -v181
	v_fmac_f32_e32 v180, 0x3e750f2a, v105
	v_add_f32_e32 v179, v179, v183
	v_fmac_f32_e32 v182, 0xbf3f9e67, v107
	v_mul_f32_e32 v183, 0xbf3f9e67, v124
	v_add_f32_e32 v181, v181, v185
	v_mul_f32_e32 v185, 0x3f7e222b, v106
	v_add_f32_e32 v180, v180, v184
	v_add_f32_e32 v182, v182, v186
	v_mov_b32_e32 v184, v183
	v_fmac_f32_e32 v183, 0x3f29c268, v105
	v_mov_b32_e32 v186, v185
	v_fma_f32 v185, v107, s14, -v185
	v_mul_f32_e32 v106, 0x3eedf032, v106
	v_fmac_f32_e32 v184, 0xbf29c268, v105
	v_add_f32_e32 v183, v183, v187
	v_fmac_f32_e32 v186, 0x3df6dbef, v107
	v_mul_f32_e32 v187, 0x3df6dbef, v124
	v_add_f32_e32 v185, v185, v189
	v_mov_b32_e32 v189, v106
	v_mul_f32_e32 v124, 0x3f62ad3f, v124
	v_fma_f32 v106, v107, s6, -v106
	v_add_f32_e32 v184, v184, v188
	v_add_f32_e32 v186, v186, v190
	v_mov_b32_e32 v188, v187
	v_mov_b32_e32 v190, v124
	v_add_f32_e32 v100, v106, v100
	v_add_f32_e32 v106, v122, v104
	v_sub_f32_e32 v104, v122, v104
	v_fmac_f32_e32 v188, 0xbf7e222b, v105
	v_fmac_f32_e32 v187, 0x3f7e222b, v105
	;; [unrolled: 1-line block ×5, first 2 shown]
	v_add_f32_e32 v105, v121, v111
	v_sub_f32_e32 v107, v121, v111
	v_mul_f32_e32 v111, 0xbf7e222b, v104
	v_mul_f32_e32 v122, 0x3df6dbef, v106
	v_add_f32_e32 v101, v124, v101
	v_mov_b32_e32 v121, v111
	v_mov_b32_e32 v124, v122
	v_fma_f32 v111, v105, s14, -v111
	v_fmac_f32_e32 v122, 0xbf7e222b, v107
	v_fmac_f32_e32 v121, 0x3df6dbef, v105
	v_add_f32_e32 v111, v111, v120
	v_add_f32_e32 v120, v122, v126
	v_mul_f32_e32 v122, 0xbe750f2a, v104
	v_add_f32_e32 v121, v121, v125
	v_mov_b32_e32 v125, v122
	v_fma_f32 v122, v105, s17, -v122
	v_fmac_f32_e32 v124, 0x3f7e222b, v107
	v_fmac_f32_e32 v125, 0xbf788fa5, v105
	v_mul_f32_e32 v126, 0xbf788fa5, v106
	v_add_f32_e32 v122, v122, v127
	v_mul_f32_e32 v127, 0x3f6f5d39, v104
	v_add_f32_e32 v124, v124, v128
	v_add_f32_e32 v125, v125, v129
	v_mov_b32_e32 v128, v126
	v_fmac_f32_e32 v126, 0xbe750f2a, v107
	v_mov_b32_e32 v129, v127
	v_fma_f32 v127, v105, s15, -v127
	v_fmac_f32_e32 v128, 0x3e750f2a, v107
	v_add_f32_e32 v126, v126, v162
	v_fmac_f32_e32 v129, 0xbeb58ec6, v105
	v_mul_f32_e32 v162, 0xbeb58ec6, v106
	v_add_f32_e32 v127, v127, v177
	v_mul_f32_e32 v177, 0x3eedf032, v104
	v_add_f32_e32 v128, v128, v174
	v_add_f32_e32 v129, v129, v178
	v_mov_b32_e32 v174, v162
	v_fmac_f32_e32 v162, 0x3f6f5d39, v107
	v_mov_b32_e32 v178, v177
	v_fma_f32 v177, v105, s6, -v177
	v_fmac_f32_e32 v174, 0xbf6f5d39, v107
	v_add_f32_e32 v162, v162, v179
	v_fmac_f32_e32 v178, 0x3f62ad3f, v105
	v_mul_f32_e32 v179, 0x3f62ad3f, v106
	v_add_f32_e32 v177, v177, v181
	v_mul_f32_e32 v181, 0xbf52af12, v104
	v_add_f32_e32 v174, v174, v180
	v_add_f32_e32 v178, v178, v182
	v_mov_b32_e32 v180, v179
	v_fmac_f32_e32 v179, 0x3eedf032, v107
	v_mov_b32_e32 v182, v181
	v_fmac_f32_e32 v180, 0xbeedf032, v107
	v_add_f32_e32 v179, v179, v183
	v_fmac_f32_e32 v182, 0x3f116cb1, v105
	v_mul_f32_e32 v183, 0x3f116cb1, v106
	v_mul_f32_e32 v106, 0xbf3f9e67, v106
	v_add_f32_e32 v180, v180, v184
	v_add_f32_e32 v182, v182, v186
	v_mov_b32_e32 v184, v183
	v_fma_f32 v181, v105, s7, -v181
	v_mul_f32_e32 v104, 0xbf29c268, v104
	v_mov_b32_e32 v186, v106
	v_fmac_f32_e32 v184, 0x3f52af12, v107
	v_add_f32_e32 v181, v181, v185
	v_fmac_f32_e32 v183, 0xbf52af12, v107
	v_mov_b32_e32 v185, v104
	v_fmac_f32_e32 v186, 0x3f29c268, v107
	v_fma_f32 v104, v105, s16, -v104
	v_fmac_f32_e32 v106, 0xbf29c268, v107
	v_sub_f32_e32 v107, v116, v110
	v_add_f32_e32 v100, v104, v100
	v_add_f32_e32 v101, v106, v101
	;; [unrolled: 1-line block ×3, first 2 shown]
	v_sub_f32_e32 v106, v123, v109
	v_mul_f32_e32 v109, 0xbf6f5d39, v107
	v_fmac_f32_e32 v185, 0xbf3f9e67, v105
	v_add_f32_e32 v105, v116, v110
	v_mov_b32_e32 v110, v109
	v_fmac_f32_e32 v110, 0xbeb58ec6, v104
	v_mul_f32_e32 v116, 0xbeb58ec6, v105
	v_add_f32_e32 v110, v110, v121
	v_mov_b32_e32 v121, v116
	v_fma_f32 v109, v104, s15, -v109
	v_fmac_f32_e32 v116, 0xbf6f5d39, v106
	v_fmac_f32_e32 v121, 0x3f6f5d39, v106
	v_add_f32_e32 v109, v109, v111
	v_add_f32_e32 v111, v116, v120
	v_mul_f32_e32 v116, 0x3f29c268, v107
	v_mul_f32_e32 v123, 0xbf3f9e67, v105
	v_add_f32_e32 v121, v121, v124
	v_mov_b32_e32 v120, v116
	v_mov_b32_e32 v124, v123
	v_fma_f32 v116, v104, s16, -v116
	v_fmac_f32_e32 v123, 0x3f29c268, v106
	v_fmac_f32_e32 v120, 0xbf3f9e67, v104
	v_add_f32_e32 v116, v116, v122
	v_add_f32_e32 v122, v123, v126
	v_mul_f32_e32 v123, 0x3eedf032, v107
	v_add_f32_e32 v120, v120, v125
	v_mov_b32_e32 v125, v123
	v_fma_f32 v123, v104, s6, -v123
	v_fmac_f32_e32 v124, 0xbf29c268, v106
	v_fmac_f32_e32 v125, 0x3f62ad3f, v104
	v_mul_f32_e32 v126, 0x3f62ad3f, v105
	v_add_f32_e32 v123, v123, v127
	v_mul_f32_e32 v127, 0xbf7e222b, v107
	v_add_f32_e32 v124, v124, v128
	v_add_f32_e32 v125, v125, v129
	v_mov_b32_e32 v128, v126
	v_fmac_f32_e32 v126, 0x3eedf032, v106
	v_mov_b32_e32 v129, v127
	v_fma_f32 v127, v104, s14, -v127
	v_fmac_f32_e32 v128, 0xbeedf032, v106
	v_add_f32_e32 v126, v126, v162
	v_fmac_f32_e32 v129, 0x3df6dbef, v104
	v_mul_f32_e32 v162, 0x3df6dbef, v105
	v_add_f32_e32 v127, v127, v177
	v_mul_f32_e32 v177, 0x3e750f2a, v107
	v_add_f32_e32 v128, v128, v174
	v_add_f32_e32 v129, v129, v178
	v_mov_b32_e32 v174, v162
	v_fmac_f32_e32 v162, 0xbf7e222b, v106
	v_mov_b32_e32 v178, v177
	v_fma_f32 v177, v104, s17, -v177
	v_mul_f32_e32 v107, 0x3f52af12, v107
	v_add_f32_e32 v162, v162, v179
	v_fmac_f32_e32 v178, 0xbf788fa5, v104
	v_mul_f32_e32 v179, 0xbf788fa5, v105
	v_add_f32_e32 v177, v177, v181
	v_mov_b32_e32 v181, v107
	v_mul_f32_e32 v105, 0x3f116cb1, v105
	v_fmac_f32_e32 v174, 0x3f7e222b, v106
	v_add_f32_e32 v178, v178, v182
	v_fmac_f32_e32 v181, 0x3f116cb1, v104
	v_mov_b32_e32 v182, v105
	v_fma_f32 v104, v104, s7, -v107
	v_fmac_f32_e32 v105, 0x3f52af12, v106
	v_sub_f32_e32 v107, v118, v108
	v_add_f32_e32 v174, v174, v180
	v_mov_b32_e32 v180, v179
	v_add_f32_e32 v101, v105, v101
	v_add_f32_e32 v105, v118, v108
	v_mul_f32_e32 v108, 0xbf29c268, v107
	v_fmac_f32_e32 v180, 0xbe750f2a, v106
	v_fmac_f32_e32 v179, 0x3e750f2a, v106
	;; [unrolled: 1-line block ×3, first 2 shown]
	v_add_f32_e32 v100, v104, v100
	v_add_f32_e32 v104, v117, v115
	v_sub_f32_e32 v106, v117, v115
	v_mov_b32_e32 v115, v108
	v_fmac_f32_e32 v115, 0xbf3f9e67, v104
	v_add_f32_e32 v110, v115, v110
	v_mul_f32_e32 v115, 0xbf3f9e67, v105
	v_mov_b32_e32 v117, v115
	v_fma_f32 v108, v104, s16, -v108
	v_fmac_f32_e32 v115, 0xbf29c268, v106
	v_add_f32_e32 v108, v108, v109
	v_add_f32_e32 v109, v115, v111
	v_mul_f32_e32 v111, 0x3f7e222b, v107
	v_mov_b32_e32 v115, v111
	v_fmac_f32_e32 v115, 0x3df6dbef, v104
	v_mul_f32_e32 v118, 0x3df6dbef, v105
	v_add_f32_e32 v115, v115, v120
	v_mov_b32_e32 v120, v118
	v_fma_f32 v111, v104, s14, -v111
	v_fmac_f32_e32 v118, 0x3f7e222b, v106
	v_fmac_f32_e32 v117, 0x3f29c268, v106
	v_add_f32_e32 v111, v111, v116
	v_add_f32_e32 v116, v118, v122
	v_mul_f32_e32 v118, 0xbf52af12, v107
	v_add_f32_e32 v117, v117, v121
	v_mov_b32_e32 v121, v118
	v_fma_f32 v118, v104, s7, -v118
	v_fmac_f32_e32 v120, 0xbf7e222b, v106
	v_fmac_f32_e32 v121, 0x3f116cb1, v104
	v_mul_f32_e32 v122, 0x3f116cb1, v105
	v_add_f32_e32 v118, v118, v123
	v_mul_f32_e32 v123, 0x3e750f2a, v107
	v_add_f32_e32 v120, v120, v124
	v_add_f32_e32 v121, v121, v125
	v_mov_b32_e32 v124, v122
	v_fmac_f32_e32 v122, 0xbf52af12, v106
	v_mov_b32_e32 v125, v123
	v_fma_f32 v123, v104, s17, -v123
	v_fmac_f32_e32 v124, 0x3f52af12, v106
	v_add_f32_e32 v122, v122, v126
	v_fmac_f32_e32 v125, 0xbf788fa5, v104
	v_mul_f32_e32 v126, 0xbf788fa5, v105
	v_add_f32_e32 v123, v123, v127
	v_mul_f32_e32 v127, 0x3eedf032, v107
	v_add_f32_e32 v124, v124, v128
	v_add_f32_e32 v125, v125, v129
	v_mov_b32_e32 v128, v126
	v_fmac_f32_e32 v126, 0x3e750f2a, v106
	v_mov_b32_e32 v129, v127
	v_add_f32_e32 v190, v190, v194
	v_add_f32_e32 v126, v126, v162
	v_fmac_f32_e32 v129, 0x3f62ad3f, v104
	v_mul_f32_e32 v162, 0x3f62ad3f, v105
	v_mul_f32_e32 v105, 0xbeb58ec6, v105
	v_add_f32_e32 v188, v188, v192
	v_add_f32_e32 v186, v186, v190
	v_fmac_f32_e32 v128, 0xbe750f2a, v106
	v_add_f32_e32 v129, v129, v178
	v_mov_b32_e32 v178, v105
	v_add_f32_e32 v187, v187, v191
	v_add_f32_e32 v189, v189, v193
	;; [unrolled: 1-line block ×5, first 2 shown]
	v_mov_b32_e32 v174, v162
	v_fma_f32 v127, v104, s6, -v127
	v_mul_f32_e32 v107, 0xbf6f5d39, v107
	v_fmac_f32_e32 v178, 0x3f6f5d39, v106
	v_add_f32_e32 v183, v183, v187
	v_add_f32_e32 v185, v185, v189
	;; [unrolled: 1-line block ×3, first 2 shown]
	v_fmac_f32_e32 v174, 0xbeedf032, v106
	v_add_f32_e32 v127, v127, v177
	v_mov_b32_e32 v177, v107
	v_add_f32_e32 v178, v178, v182
	v_fmac_f32_e32 v105, 0xbf6f5d39, v106
	v_add_f32_e32 v182, v112, v114
	v_add_f32_e32 v179, v179, v183
	v_add_f32_e32 v181, v181, v185
	v_add_f32_e32 v174, v174, v180
	v_fmac_f32_e32 v162, 0x3eedf032, v106
	v_fmac_f32_e32 v177, 0xbeb58ec6, v104
	v_fma_f32 v104, v104, s15, -v107
	v_add_f32_e32 v180, v105, v101
	v_sub_f32_e32 v183, v119, v113
	v_sub_f32_e32 v184, v112, v114
	v_mul_f32_e32 v105, 0xbf788fa5, v182
	v_add_f32_e32 v162, v162, v179
	v_add_f32_e32 v177, v177, v181
	;; [unrolled: 1-line block ×4, first 2 shown]
	v_mul_f32_e32 v104, 0xbe750f2a, v184
	v_mov_b32_e32 v101, v105
	v_fmac_f32_e32 v105, 0xbe750f2a, v183
	v_mov_b32_e32 v100, v104
	v_fma_f32 v104, v181, s17, -v104
	v_add_f32_e32 v105, v105, v109
	v_mul_f32_e32 v109, 0x3f62ad3f, v182
	v_add_f32_e32 v104, v104, v108
	v_mul_f32_e32 v108, 0x3eedf032, v184
	v_mov_b32_e32 v107, v109
	v_fmac_f32_e32 v109, 0x3eedf032, v183
	v_fmac_f32_e32 v100, 0xbf788fa5, v181
	v_mov_b32_e32 v106, v108
	v_fma_f32 v108, v181, s6, -v108
	v_add_f32_e32 v109, v109, v116
	v_mul_f32_e32 v112, 0xbf29c268, v184
	v_mul_f32_e32 v113, 0xbf3f9e67, v182
	;; [unrolled: 1-line block ×3, first 2 shown]
	v_add_f32_e32 v100, v100, v110
	v_add_f32_e32 v108, v108, v111
	v_mov_b32_e32 v110, v112
	v_mov_b32_e32 v111, v113
	;; [unrolled: 1-line block ×3, first 2 shown]
	v_fmac_f32_e32 v101, 0x3e750f2a, v183
	v_fmac_f32_e32 v107, 0xbeedf032, v183
	;; [unrolled: 1-line block ×5, first 2 shown]
	v_add_f32_e32 v101, v101, v117
	v_fmac_f32_e32 v106, 0x3f62ad3f, v181
	v_add_f32_e32 v107, v107, v120
	v_add_f32_e32 v110, v110, v121
	v_add_f32_e32 v111, v111, v124
	v_fma_f32 v112, v181, s16, -v112
	v_fmac_f32_e32 v113, 0xbf29c268, v183
	v_add_f32_e32 v114, v114, v125
	v_mul_f32_e32 v117, 0x3f116cb1, v182
	v_fma_f32 v116, v181, s7, -v116
	v_mul_f32_e32 v120, 0xbf6f5d39, v184
	v_mul_f32_e32 v121, 0xbeb58ec6, v182
	;; [unrolled: 1-line block ×4, first 2 shown]
	v_add_f32_e32 v106, v106, v115
	v_add_f32_e32 v112, v112, v118
	;; [unrolled: 1-line block ×3, first 2 shown]
	v_mov_b32_e32 v115, v117
	v_add_f32_e32 v116, v116, v123
	v_mov_b32_e32 v118, v120
	v_mov_b32_e32 v119, v121
	;; [unrolled: 1-line block ×4, first 2 shown]
	v_fmac_f32_e32 v115, 0xbf52af12, v183
	v_fmac_f32_e32 v117, 0x3f52af12, v183
	;; [unrolled: 1-line block ×4, first 2 shown]
	v_fma_f32 v120, v181, s15, -v120
	v_fmac_f32_e32 v121, 0xbf6f5d39, v183
	v_fmac_f32_e32 v122, 0x3df6dbef, v181
	v_fmac_f32_e32 v123, 0xbf7e222b, v183
	v_fma_f32 v124, v181, s14, -v124
	v_fmac_f32_e32 v125, 0x3f7e222b, v183
	v_add_f32_e32 v115, v115, v128
	v_add_f32_e32 v117, v117, v126
	;; [unrolled: 1-line block ×10, first 2 shown]
	s_waitcnt lgkmcnt(0)
	; wave barrier
	ds_write2_b64 v200, v[102:103], v[100:101] offset1:4
	ds_write2_b64 v200, v[106:107], v[110:111] offset0:8 offset1:12
	ds_write2_b64 v200, v[114:115], v[118:119] offset0:16 offset1:20
	;; [unrolled: 1-line block ×5, first 2 shown]
	ds_write_b64 v200, v[104:105] offset:384
	s_and_saveexec_b64 s[4:5], s[2:3]
	s_cbranch_execz .LBB0_29
; %bb.28:
	v_mul_f32_e32 v101, v13, v87
	v_mul_f32_e32 v102, v23, v172
	v_fmac_f32_e32 v101, v12, v86
	v_fmac_f32_e32 v102, v22, v171
	v_sub_f32_e32 v100, v101, v102
	v_mul_f32_e32 v23, v23, v171
	v_mul_f32_e32 v13, v13, v86
	;; [unrolled: 1-line block ×3, first 2 shown]
	v_fma_f32 v22, v22, v172, -v23
	v_fma_f32 v23, v12, v87, -v13
	v_add_f32_e32 v13, v22, v23
	v_mov_b32_e32 v12, v103
	v_mul_f32_e32 v87, v15, v97
	v_mul_f32_e32 v104, v21, v79
	v_fmac_f32_e32 v12, 0xbf788fa5, v13
	v_fmac_f32_e32 v87, v14, v96
	;; [unrolled: 1-line block ×3, first 2 shown]
	v_add_f32_e32 v86, v85, v12
	v_sub_f32_e32 v12, v87, v104
	v_mul_f32_e32 v21, v21, v78
	v_mul_f32_e32 v15, v15, v96
	;; [unrolled: 1-line block ×3, first 2 shown]
	v_fma_f32 v20, v20, v79, -v21
	v_fma_f32 v15, v14, v97, -v15
	v_add_f32_e32 v14, v20, v15
	v_mov_b32_e32 v21, v105
	v_mul_f32_e32 v78, v9, v99
	v_mul_f32_e32 v79, v19, v77
	v_fmac_f32_e32 v21, 0x3f62ad3f, v14
	v_fmac_f32_e32 v78, v8, v98
	;; [unrolled: 1-line block ×3, first 2 shown]
	v_add_f32_e32 v21, v21, v86
	v_sub_f32_e32 v86, v78, v79
	v_mul_f32_e32 v19, v19, v76
	v_mul_f32_e32 v9, v9, v98
	v_mul_f32_e32 v96, 0xbf29c268, v86
	v_fma_f32 v18, v18, v77, -v19
	v_fma_f32 v19, v8, v99, -v9
	v_add_f32_e32 v76, v18, v19
	v_mov_b32_e32 v8, v96
	v_fmac_f32_e32 v8, 0xbf3f9e67, v76
	v_add_f32_e32 v8, v8, v21
	v_mul_f32_e32 v21, v11, v93
	v_mul_f32_e32 v77, v17, v83
	v_fmac_f32_e32 v21, v10, v92
	v_fmac_f32_e32 v77, v16, v82
	v_sub_f32_e32 v97, v21, v77
	v_mul_f32_e32 v17, v17, v82
	v_mul_f32_e32 v11, v11, v92
	;; [unrolled: 1-line block ×3, first 2 shown]
	v_fma_f32 v16, v16, v83, -v17
	v_fma_f32 v17, v10, v93, -v11
	v_mul_f32_e32 v83, v1, v95
	v_mul_f32_e32 v92, v7, v81
	;; [unrolled: 1-line block ×4, first 2 shown]
	v_add_f32_e32 v82, v16, v17
	v_mov_b32_e32 v10, v9
	v_fmac_f32_e32 v83, v0, v94
	v_fmac_f32_e32 v92, v6, v80
	v_fma_f32 v80, v6, v81, -v7
	v_fma_f32 v81, v0, v95, -v1
	v_mul_f32_e32 v95, v3, v89
	v_mul_f32_e32 v98, v5, v91
	v_fmac_f32_e32 v10, 0x3f116cb1, v82
	v_sub_f32_e32 v93, v83, v92
	v_fmac_f32_e32 v95, v2, v88
	v_fmac_f32_e32 v98, v4, v90
	v_mul_f32_e32 v1, v5, v90
	v_add_f32_e32 v8, v10, v8
	v_mul_f32_e32 v10, 0xbf6f5d39, v93
	v_sub_f32_e32 v99, v95, v98
	v_fma_f32 v90, v4, v91, -v1
	v_mul_f32_e32 v1, v3, v88
	v_add_f32_e32 v94, v80, v81
	v_mov_b32_e32 v0, v10
	v_mul_f32_e32 v6, 0x3f7e222b, v99
	v_fma_f32 v88, v2, v89, -v1
	v_fmac_f32_e32 v0, 0xbeb58ec6, v94
	v_add_f32_e32 v89, v90, v88
	v_mov_b32_e32 v1, v6
	v_sub_f32_e32 v106, v23, v22
	v_add_f32_e32 v0, v0, v8
	v_fmac_f32_e32 v1, 0x3df6dbef, v89
	v_add_f32_e32 v91, v102, v101
	v_mul_f32_e32 v2, 0xbe750f2a, v106
	v_sub_f32_e32 v108, v15, v20
	v_add_f32_e32 v1, v1, v0
	v_fma_f32 v0, v91, s17, -v2
	v_add_f32_e32 v107, v104, v87
	v_mul_f32_e32 v4, 0x3eedf032, v108
	v_sub_f32_e32 v110, v19, v18
	v_add_f32_e32 v0, v84, v0
	v_fma_f32 v3, v107, s6, -v4
	;; [unrolled: 5-line block ×5, first 2 shown]
	v_add_f32_e32 v115, v98, v95
	v_mul_f32_e32 v11, 0x3f7e222b, v116
	v_add_f32_e32 v0, v3, v0
	v_fma_f32 v3, v115, s14, -v11
	v_add_f32_e32 v0, v3, v0
	v_fma_f32 v3, v13, s17, -v103
	;; [unrolled: 2-line block ×4, first 2 shown]
	v_fmac_f32_e32 v2, 0xbf788fa5, v91
	v_add_f32_e32 v3, v96, v3
	v_add_f32_e32 v2, v84, v2
	v_fmac_f32_e32 v4, 0x3f62ad3f, v107
	v_mul_f32_e32 v96, 0xbf3f9e67, v13
	v_add_f32_e32 v2, v4, v2
	v_fmac_f32_e32 v5, 0xbf3f9e67, v109
	v_mov_b32_e32 v4, v96
	v_mul_f32_e32 v103, 0x3df6dbef, v14
	v_add_f32_e32 v2, v5, v2
	v_fmac_f32_e32 v4, 0x3f29c268, v100
	v_mov_b32_e32 v5, v103
	v_add_f32_e32 v4, v85, v4
	v_fmac_f32_e32 v5, 0xbf7e222b, v12
	v_mul_f32_e32 v105, 0x3f116cb1, v76
	v_add_f32_e32 v4, v5, v4
	v_mov_b32_e32 v5, v105
	v_fmac_f32_e32 v5, 0x3f52af12, v86
	v_mul_f32_e32 v117, 0xbf788fa5, v82
	v_add_f32_e32 v4, v5, v4
	v_mov_b32_e32 v5, v117
	;; [unrolled: 4-line block ×3, first 2 shown]
	v_fmac_f32_e32 v5, 0xbeedf032, v93
	v_mul_f32_e32 v119, 0xbeb58ec6, v89
	v_fma_f32 v9, v82, s7, -v9
	v_add_f32_e32 v4, v5, v4
	v_mov_b32_e32 v5, v119
	v_add_f32_e32 v3, v9, v3
	v_fma_f32 v9, v94, s15, -v10
	v_fmac_f32_e32 v5, 0x3f6f5d39, v99
	v_mul_f32_e32 v120, 0xbf29c268, v106
	v_add_f32_e32 v3, v9, v3
	v_fma_f32 v6, v89, s14, -v6
	v_add_f32_e32 v5, v5, v4
	v_mov_b32_e32 v4, v120
	v_mul_f32_e32 v121, 0x3f7e222b, v108
	v_add_f32_e32 v3, v6, v3
	v_fmac_f32_e32 v4, 0xbf3f9e67, v91
	v_mov_b32_e32 v6, v121
	v_add_f32_e32 v4, v84, v4
	v_fmac_f32_e32 v6, 0x3df6dbef, v107
	v_mul_f32_e32 v122, 0xbf52af12, v110
	v_add_f32_e32 v4, v6, v4
	v_mov_b32_e32 v6, v122
	v_fmac_f32_e32 v6, 0x3f116cb1, v109
	v_mul_f32_e32 v123, 0x3e750f2a, v112
	v_add_f32_e32 v4, v6, v4
	v_mov_b32_e32 v6, v123
	;; [unrolled: 4-line block ×4, first 2 shown]
	v_fmac_f32_e32 v6, 0xbeb58ec6, v115
	v_mul_f32_e32 v126, 0xbeb58ec6, v13
	v_fmac_f32_e32 v7, 0x3f116cb1, v111
	v_add_f32_e32 v4, v6, v4
	v_mov_b32_e32 v6, v126
	v_mul_f32_e32 v127, 0xbf3f9e67, v14
	v_add_f32_e32 v2, v7, v2
	v_fmac_f32_e32 v6, 0x3f6f5d39, v100
	v_mov_b32_e32 v7, v127
	v_add_f32_e32 v6, v85, v6
	v_fmac_f32_e32 v7, 0xbf29c268, v12
	v_mul_f32_e32 v128, 0x3f62ad3f, v76
	v_add_f32_e32 v6, v7, v6
	v_mov_b32_e32 v7, v128
	v_fmac_f32_e32 v7, 0xbeedf032, v86
	v_mul_f32_e32 v129, 0x3df6dbef, v82
	v_add_f32_e32 v6, v7, v6
	v_mov_b32_e32 v7, v129
	;; [unrolled: 4-line block ×4, first 2 shown]
	v_fmac_f32_e32 v7, 0xbf52af12, v99
	v_mul_f32_e32 v172, 0xbf6f5d39, v106
	v_fmac_f32_e32 v8, 0xbeb58ec6, v113
	v_add_f32_e32 v7, v7, v6
	v_mov_b32_e32 v6, v172
	v_mul_f32_e32 v174, 0x3f29c268, v108
	v_add_f32_e32 v2, v8, v2
	v_fmac_f32_e32 v6, 0xbeb58ec6, v91
	v_mov_b32_e32 v8, v174
	v_add_f32_e32 v6, v84, v6
	v_fmac_f32_e32 v8, 0xbf3f9e67, v107
	v_mul_f32_e32 v177, 0x3eedf032, v110
	v_add_f32_e32 v6, v8, v6
	v_mov_b32_e32 v8, v177
	v_fmac_f32_e32 v8, 0x3f62ad3f, v109
	v_mul_f32_e32 v178, 0xbf7e222b, v112
	v_add_f32_e32 v6, v8, v6
	v_mov_b32_e32 v8, v178
	;; [unrolled: 4-line block ×5, first 2 shown]
	v_mul_f32_e32 v182, 0xbf788fa5, v14
	v_fmac_f32_e32 v8, 0x3f7e222b, v100
	v_mov_b32_e32 v9, v182
	v_add_f32_e32 v8, v85, v8
	v_fmac_f32_e32 v9, 0x3e750f2a, v12
	v_mul_f32_e32 v183, 0xbeb58ec6, v76
	v_add_f32_e32 v8, v9, v8
	v_mov_b32_e32 v9, v183
	v_fmac_f32_e32 v9, 0xbf6f5d39, v86
	v_mul_f32_e32 v184, 0x3f62ad3f, v82
	v_add_f32_e32 v8, v9, v8
	v_mov_b32_e32 v9, v184
	;; [unrolled: 4-line block ×5, first 2 shown]
	v_mul_f32_e32 v188, 0xbe750f2a, v108
	v_fmac_f32_e32 v8, 0x3df6dbef, v91
	v_mov_b32_e32 v10, v188
	v_add_f32_e32 v8, v84, v8
	v_fmac_f32_e32 v10, 0xbf788fa5, v107
	v_mul_f32_e32 v189, 0x3f6f5d39, v110
	v_add_f32_e32 v8, v10, v8
	v_mov_b32_e32 v10, v189
	v_fmac_f32_e32 v10, 0xbeb58ec6, v109
	v_mul_f32_e32 v190, 0x3eedf032, v112
	v_add_f32_e32 v8, v10, v8
	v_mov_b32_e32 v10, v190
	;; [unrolled: 4-line block ×4, first 2 shown]
	v_fmac_f32_e32 v10, 0xbf3f9e67, v115
	v_mul_f32_e32 v193, 0x3f116cb1, v13
	v_fmac_f32_e32 v11, 0x3df6dbef, v115
	v_add_f32_e32 v8, v10, v8
	v_mov_b32_e32 v10, v193
	v_mul_f32_e32 v194, 0xbeb58ec6, v14
	v_add_f32_e32 v2, v11, v2
	v_fmac_f32_e32 v10, 0x3f52af12, v100
	v_mov_b32_e32 v11, v194
	v_add_f32_e32 v10, v85, v10
	v_fmac_f32_e32 v11, 0x3f6f5d39, v12
	v_mul_f32_e32 v195, 0xbf788fa5, v76
	v_add_f32_e32 v10, v11, v10
	v_mov_b32_e32 v11, v195
	v_fmac_f32_e32 v11, 0x3e750f2a, v86
	v_mul_f32_e32 v196, 0xbf3f9e67, v82
	v_add_f32_e32 v10, v11, v10
	v_mov_b32_e32 v11, v196
	v_fmac_f32_e32 v11, 0xbf29c268, v97
	v_mul_f32_e32 v197, 0x3df6dbef, v94
	v_add_f32_e32 v23, v23, v85
	v_add_f32_e32 v10, v11, v10
	v_mov_b32_e32 v11, v197
	v_add_f32_e32 v15, v15, v23
	v_fmac_f32_e32 v11, 0xbf7e222b, v93
	v_mul_f32_e32 v198, 0x3f62ad3f, v89
	v_add_f32_e32 v15, v19, v15
	v_add_f32_e32 v10, v11, v10
	v_mov_b32_e32 v11, v198
	v_add_f32_e32 v15, v17, v15
	v_fmac_f32_e32 v96, 0xbf29c268, v100
	v_fmac_f32_e32 v11, 0xbeedf032, v99
	v_mul_f32_e32 v200, 0xbf52af12, v106
	v_add_f32_e32 v15, v81, v15
	v_add_f32_e32 v17, v85, v96
	v_fmac_f32_e32 v103, 0x3f7e222b, v12
	v_add_f32_e32 v11, v11, v10
	v_mov_b32_e32 v10, v200
	v_mul_f32_e32 v201, 0xbf6f5d39, v108
	v_add_f32_e32 v15, v88, v15
	v_add_f32_e32 v17, v103, v17
	v_fmac_f32_e32 v105, 0xbf52af12, v86
	v_fmac_f32_e32 v10, 0x3f116cb1, v91
	v_mov_b32_e32 v202, v201
	v_add_f32_e32 v15, v90, v15
	v_add_f32_e32 v17, v105, v17
	v_fmac_f32_e32 v117, 0x3e750f2a, v97
	v_add_f32_e32 v10, v84, v10
	v_fmac_f32_e32 v202, 0xbeb58ec6, v107
	v_add_f32_e32 v15, v80, v15
	v_add_f32_e32 v17, v117, v17
	v_fmac_f32_e32 v118, 0x3eedf032, v93
	v_add_f32_e32 v10, v202, v10
	v_mul_f32_e32 v202, 0xbe750f2a, v110
	v_add_f32_e32 v15, v16, v15
	v_add_f32_e32 v17, v118, v17
	v_fmac_f32_e32 v119, 0xbf6f5d39, v99
	v_mov_b32_e32 v203, v202
	v_add_f32_e32 v15, v18, v15
	v_add_f32_e32 v18, v119, v17
	v_fma_f32 v17, v91, s16, -v120
	v_fmac_f32_e32 v203, 0xbf788fa5, v109
	v_add_f32_e32 v17, v84, v17
	v_fma_f32 v19, v107, s14, -v121
	v_add_f32_e32 v10, v203, v10
	v_mul_f32_e32 v203, 0x3f29c268, v112
	v_add_f32_e32 v17, v19, v17
	v_fma_f32 v19, v109, s7, -v122
	v_mov_b32_e32 v204, v203
	v_add_f32_e32 v17, v19, v17
	v_fma_f32 v19, v111, s17, -v123
	v_fmac_f32_e32 v204, 0xbf3f9e67, v111
	v_add_f32_e32 v17, v19, v17
	v_fma_f32 v19, v113, s6, -v124
	v_add_f32_e32 v10, v204, v10
	v_mul_f32_e32 v204, 0x3f7e222b, v114
	v_add_f32_e32 v17, v19, v17
	v_fma_f32 v19, v115, s15, -v125
	v_fmac_f32_e32 v126, 0xbf6f5d39, v100
	v_mov_b32_e32 v205, v204
	v_add_f32_e32 v17, v19, v17
	v_add_f32_e32 v19, v85, v126
	v_fmac_f32_e32 v127, 0x3f29c268, v12
	v_fmac_f32_e32 v205, 0x3df6dbef, v113
	v_add_f32_e32 v19, v127, v19
	v_fmac_f32_e32 v128, 0x3eedf032, v86
	v_add_f32_e32 v10, v205, v10
	v_mul_f32_e32 v205, 0x3eedf032, v116
	v_add_f32_e32 v15, v20, v15
	v_add_f32_e32 v19, v128, v19
	v_fmac_f32_e32 v129, 0xbf7e222b, v97
	v_mov_b32_e32 v206, v205
	v_add_f32_e32 v16, v22, v15
	v_add_f32_e32 v15, v84, v101
	;; [unrolled: 1-line block ×3, first 2 shown]
	v_fmac_f32_e32 v162, 0x3e750f2a, v93
	v_fmac_f32_e32 v206, 0x3f62ad3f, v115
	v_add_f32_e32 v15, v87, v15
	v_add_f32_e32 v19, v162, v19
	v_fmac_f32_e32 v171, 0x3f52af12, v99
	v_add_f32_e32 v10, v206, v10
	v_mul_f32_e32 v206, 0x3f62ad3f, v13
	v_add_f32_e32 v15, v78, v15
	v_add_f32_e32 v20, v171, v19
	v_fma_f32 v19, v91, s15, -v172
	v_mov_b32_e32 v13, v206
	v_mul_f32_e32 v207, 0x3f116cb1, v14
	v_add_f32_e32 v15, v21, v15
	v_add_f32_e32 v19, v84, v19
	v_fma_f32 v21, v107, s16, -v174
	v_fmac_f32_e32 v13, 0x3eedf032, v100
	v_mov_b32_e32 v14, v207
	v_add_f32_e32 v19, v21, v19
	v_fma_f32 v21, v109, s6, -v177
	v_add_f32_e32 v13, v85, v13
	v_fmac_f32_e32 v14, 0x3f52af12, v12
	v_mul_f32_e32 v208, 0x3df6dbef, v76
	v_add_f32_e32 v19, v21, v19
	v_fma_f32 v21, v111, s14, -v178
	v_add_f32_e32 v13, v14, v13
	v_mov_b32_e32 v14, v208
	v_add_f32_e32 v19, v21, v19
	v_fma_f32 v21, v113, s17, -v179
	v_fmac_f32_e32 v14, 0x3f7e222b, v86
	v_mul_f32_e32 v82, 0xbeb58ec6, v82
	v_add_f32_e32 v19, v21, v19
	v_fma_f32 v21, v115, s7, -v180
	v_fmac_f32_e32 v181, 0xbf7e222b, v100
	v_add_f32_e32 v13, v14, v13
	v_mov_b32_e32 v14, v82
	v_add_f32_e32 v19, v21, v19
	v_add_f32_e32 v21, v85, v181
	v_fmac_f32_e32 v182, 0xbe750f2a, v12
	v_fmac_f32_e32 v14, 0x3f6f5d39, v97
	v_mul_f32_e32 v94, 0xbf3f9e67, v94
	v_add_f32_e32 v21, v182, v21
	v_fmac_f32_e32 v183, 0x3f6f5d39, v86
	v_add_f32_e32 v13, v14, v13
	v_mov_b32_e32 v14, v94
	v_add_f32_e32 v21, v183, v21
	v_fmac_f32_e32 v184, 0x3eedf032, v97
	v_fmac_f32_e32 v14, 0x3f29c268, v93
	v_mul_f32_e32 v89, 0xbf788fa5, v89
	v_add_f32_e32 v21, v184, v21
	v_fmac_f32_e32 v185, 0xbf52af12, v93
	v_add_f32_e32 v13, v14, v13
	v_mov_b32_e32 v14, v89
	v_add_f32_e32 v21, v185, v21
	v_fmac_f32_e32 v186, 0xbf29c268, v99
	v_fmac_f32_e32 v14, 0x3e750f2a, v99
	v_mul_f32_e32 v106, 0xbeedf032, v106
	v_add_f32_e32 v22, v186, v21
	v_fma_f32 v21, v91, s14, -v187
	v_add_f32_e32 v14, v14, v13
	v_mov_b32_e32 v13, v106
	v_mul_f32_e32 v108, 0xbf52af12, v108
	v_add_f32_e32 v21, v84, v21
	v_fma_f32 v23, v107, s17, -v188
	v_fmac_f32_e32 v13, 0x3f62ad3f, v91
	v_mov_b32_e32 v76, v108
	v_add_f32_e32 v21, v23, v21
	v_fma_f32 v23, v109, s15, -v189
	v_add_f32_e32 v13, v84, v13
	v_fmac_f32_e32 v76, 0x3f116cb1, v107
	v_mul_f32_e32 v110, 0xbf7e222b, v110
	v_add_f32_e32 v21, v23, v21
	v_fma_f32 v23, v111, s6, -v190
	v_add_f32_e32 v13, v76, v13
	v_mov_b32_e32 v76, v110
	v_add_f32_e32 v21, v23, v21
	v_fma_f32 v23, v113, s7, -v191
	v_fmac_f32_e32 v76, 0x3df6dbef, v109
	v_mul_f32_e32 v112, 0xbf6f5d39, v112
	v_add_f32_e32 v21, v23, v21
	v_fma_f32 v23, v115, s16, -v192
	v_fmac_f32_e32 v193, 0xbf52af12, v100
	v_add_f32_e32 v13, v76, v13
	v_mov_b32_e32 v76, v112
	v_add_f32_e32 v21, v23, v21
	v_add_f32_e32 v23, v85, v193
	v_fmac_f32_e32 v194, 0xbf6f5d39, v12
	v_fmac_f32_e32 v76, 0xbeb58ec6, v111
	v_mul_f32_e32 v114, 0xbf29c268, v114
	v_add_f32_e32 v15, v83, v15
	v_add_f32_e32 v23, v194, v23
	v_fmac_f32_e32 v195, 0xbe750f2a, v86
	v_add_f32_e32 v13, v76, v13
	v_mov_b32_e32 v76, v114
	v_add_f32_e32 v15, v95, v15
	v_add_f32_e32 v23, v195, v23
	v_fmac_f32_e32 v196, 0x3f29c268, v97
	v_fmac_f32_e32 v76, 0xbf3f9e67, v113
	v_mul_f32_e32 v116, 0xbe750f2a, v116
	v_add_f32_e32 v15, v98, v15
	v_add_f32_e32 v23, v196, v23
	v_fmac_f32_e32 v197, 0x3f7e222b, v93
	v_add_f32_e32 v13, v76, v13
	v_mov_b32_e32 v76, v116
	v_add_f32_e32 v15, v92, v15
	v_add_f32_e32 v23, v197, v23
	v_fmac_f32_e32 v198, 0x3eedf032, v99
	v_fmac_f32_e32 v76, 0xbf788fa5, v115
	v_add_f32_e32 v15, v77, v15
	v_add_f32_e32 v77, v198, v23
	v_fma_f32 v23, v91, s7, -v200
	v_add_f32_e32 v13, v76, v13
	v_add_f32_e32 v23, v84, v23
	v_fma_f32 v76, v107, s15, -v201
	v_add_f32_e32 v23, v76, v23
	v_fma_f32 v76, v109, s17, -v202
	;; [unrolled: 2-line block ×5, first 2 shown]
	v_fmac_f32_e32 v206, 0xbeedf032, v100
	v_add_f32_e32 v76, v76, v23
	v_add_f32_e32 v23, v85, v206
	v_fmac_f32_e32 v207, 0xbf52af12, v12
	v_add_f32_e32 v12, v207, v23
	v_fmac_f32_e32 v208, 0xbf7e222b, v86
	;; [unrolled: 2-line block ×5, first 2 shown]
	v_add_f32_e32 v15, v79, v15
	v_add_f32_e32 v79, v89, v12
	v_fma_f32 v12, v91, s6, -v106
	v_add_f32_e32 v12, v84, v12
	v_fma_f32 v23, v107, s7, -v108
	v_add_f32_e32 v12, v23, v12
	v_fma_f32 v23, v109, s14, -v110
	v_add_f32_e32 v12, v23, v12
	v_fma_f32 v23, v111, s15, -v112
	v_add_f32_e32 v12, v23, v12
	v_fma_f32 v23, v113, s16, -v114
	v_add_f32_e32 v12, v23, v12
	v_fma_f32 v23, v115, s17, -v116
	v_add_f32_e32 v78, v23, v12
	v_mul_u32_u24_e32 v12, 52, v230
	v_add_f32_e32 v15, v104, v15
	v_or_b32_e32 v12, v12, v243
	v_add_f32_e32 v15, v102, v15
	v_lshlrev_b32_e32 v12, 3, v12
	ds_write2_b64 v12, v[15:16], v[13:14] offset1:4
	ds_write2_b64 v12, v[10:11], v[8:9] offset0:8 offset1:12
	ds_write2_b64 v12, v[6:7], v[4:5] offset0:16 offset1:20
	;; [unrolled: 1-line block ×5, first 2 shown]
	ds_write_b64 v12, v[78:79] offset:384
.LBB0_29:
	s_or_b64 exec, exec, s[4:5]
	s_waitcnt lgkmcnt(0)
	; wave barrier
	s_waitcnt lgkmcnt(0)
	ds_read2_b64 v[7:10], v175 offset1:52
	ds_read2_b64 v[11:14], v175 offset0:104 offset1:156
	v_add_u32_e32 v3, 0x800, v175
	ds_read2_b64 v[15:18], v3 offset0:56 offset1:108
	ds_read2_b64 v[19:22], v3 offset0:160 offset1:212
	v_add_u32_e32 v6, 0x1000, v175
	ds_read2_b64 v[76:79], v6 offset0:112 offset1:164
	s_waitcnt lgkmcnt(3)
	v_mul_f32_e32 v23, v33, v14
	v_fmac_f32_e32 v23, v32, v13
	v_mul_f32_e32 v13, v33, v13
	v_add_u32_e32 v4, 0x1400, v175
	v_fma_f32 v13, v32, v14, -v13
	s_waitcnt lgkmcnt(2)
	v_mul_f32_e32 v14, v35, v16
	ds_read2_b64 v[80:83], v4 offset0:88 offset1:140
	v_fmac_f32_e32 v14, v34, v15
	v_mul_f32_e32 v15, v35, v15
	v_add_u32_e32 v2, 0x1800, v175
	v_fma_f32 v15, v34, v16, -v15
	s_waitcnt lgkmcnt(2)
	v_mul_f32_e32 v16, v29, v22
	ds_read2_b64 v[84:87], v2 offset0:168 offset1:220
	v_fmac_f32_e32 v16, v28, v21
	v_mul_f32_e32 v21, v29, v21
	v_fma_f32 v21, v28, v22, -v21
	s_waitcnt lgkmcnt(2)
	v_mul_f32_e32 v22, v31, v77
	v_fmac_f32_e32 v22, v30, v76
	v_mul_f32_e32 v76, v31, v76
	v_fma_f32 v76, v30, v77, -v76
	s_waitcnt lgkmcnt(1)
	v_mul_f32_e32 v77, v25, v83
	v_add_u32_e32 v5, 0x400, v175
	v_fmac_f32_e32 v77, v24, v82
	v_mul_f32_e32 v82, v25, v82
	ds_read2_b64 v[88:91], v5 offset0:80 offset1:132
	ds_read2_b64 v[92:95], v6 offset0:8 offset1:60
	;; [unrolled: 1-line block ×3, first 2 shown]
	ds_read_b64 v[100:101], v175 offset:8320
	v_fma_f32 v82, v24, v83, -v82
	s_waitcnt lgkmcnt(4)
	v_mul_f32_e32 v83, v27, v85
	v_fmac_f32_e32 v83, v26, v84
	v_mul_f32_e32 v84, v27, v84
	v_fma_f32 v84, v26, v85, -v84
	s_waitcnt lgkmcnt(3)
	v_mul_f32_e32 v85, v33, v89
	v_mul_f32_e32 v33, v33, v88
	v_fmac_f32_e32 v85, v32, v88
	v_fma_f32 v32, v32, v89, -v33
	v_mul_f32_e32 v33, v35, v18
	v_fmac_f32_e32 v33, v34, v17
	v_mul_f32_e32 v17, v35, v17
	v_fma_f32 v34, v34, v18, -v17
	s_waitcnt lgkmcnt(2)
	v_mul_f32_e32 v35, v29, v93
	v_mul_f32_e32 v17, v29, v92
	v_fmac_f32_e32 v35, v28, v92
	v_fma_f32 v28, v28, v93, -v17
	v_mul_f32_e32 v29, v31, v79
	v_mul_f32_e32 v17, v31, v78
	v_fmac_f32_e32 v29, v30, v78
	v_fma_f32 v30, v30, v79, -v17
	s_waitcnt lgkmcnt(1)
	v_mul_f32_e32 v17, v25, v96
	v_mul_f32_e32 v31, v25, v97
	v_fma_f32 v25, v24, v97, -v17
	v_mul_f32_e32 v78, v27, v87
	v_mul_f32_e32 v17, v27, v86
	v_fmac_f32_e32 v78, v26, v86
	v_fma_f32 v26, v26, v87, -v17
	v_mul_f32_e32 v79, v45, v91
	v_mul_f32_e32 v17, v45, v90
	v_fmac_f32_e32 v79, v44, v90
	v_fma_f32 v44, v44, v91, -v17
	v_mul_f32_e32 v45, v47, v20
	v_mul_f32_e32 v17, v47, v19
	v_fmac_f32_e32 v45, v46, v19
	v_fma_f32 v46, v46, v20, -v17
	v_mul_f32_e32 v47, v41, v95
	v_mul_f32_e32 v17, v41, v94
	v_fmac_f32_e32 v47, v40, v94
	v_fma_f32 v40, v40, v95, -v17
	v_mul_f32_e32 v41, v43, v81
	v_mul_f32_e32 v17, v43, v80
	v_fmac_f32_e32 v41, v42, v80
	v_fma_f32 v42, v42, v81, -v17
	v_mul_f32_e32 v17, v37, v98
	v_mul_f32_e32 v43, v37, v99
	v_fma_f32 v37, v36, v99, -v17
	s_waitcnt lgkmcnt(0)
	v_mul_f32_e32 v80, v39, v101
	v_mul_f32_e32 v17, v39, v100
	v_fmac_f32_e32 v80, v38, v100
	v_fma_f32 v38, v38, v101, -v17
	v_add_f32_e32 v17, v23, v83
	v_add_f32_e32 v20, v14, v77
	v_fmac_f32_e32 v31, v24, v96
	v_add_f32_e32 v18, v13, v84
	v_sub_f32_e32 v19, v23, v83
	v_add_f32_e32 v23, v15, v82
	v_add_f32_e32 v24, v16, v22
	v_sub_f32_e32 v16, v22, v16
	v_add_f32_e32 v22, v20, v17
	v_fmac_f32_e32 v43, v36, v98
	v_add_f32_e32 v27, v21, v76
	v_add_f32_e32 v36, v23, v18
	;; [unrolled: 1-line block ×3, first 2 shown]
	v_sub_f32_e32 v13, v13, v84
	v_sub_f32_e32 v14, v14, v77
	;; [unrolled: 1-line block ×7, first 2 shown]
	v_add_f32_e32 v24, v27, v36
	v_add_f32_e32 v7, v7, v22
	v_mad_u64_u32 v[0:1], s[2:3], s10, v225, 0
	v_sub_f32_e32 v76, v23, v18
	v_sub_f32_e32 v18, v18, v27
	;; [unrolled: 1-line block ×3, first 2 shown]
	v_add_f32_e32 v77, v16, v14
	v_add_f32_e32 v81, v21, v15
	v_sub_f32_e32 v82, v16, v14
	v_sub_f32_e32 v83, v21, v15
	v_sub_f32_e32 v15, v15, v13
	v_add_f32_e32 v8, v8, v24
	v_mov_b32_e32 v84, v7
	v_sub_f32_e32 v16, v19, v16
	v_sub_f32_e32 v21, v13, v21
	v_sub_f32_e32 v14, v14, v19
	v_add_f32_e32 v19, v77, v19
	v_add_f32_e32 v13, v81, v13
	v_mul_f32_e32 v17, 0x3f4a47b2, v17
	v_mul_f32_e32 v18, 0x3f4a47b2, v18
	;; [unrolled: 1-line block ×6, first 2 shown]
	s_mov_b32 s2, 0xbf5ff5aa
	v_mul_f32_e32 v83, 0xbf5ff5aa, v15
	v_fmac_f32_e32 v84, 0xbf955555, v22
	v_mov_b32_e32 v22, v8
	s_mov_b32 s3, 0x3f3bfb3b
	s_mov_b32 s4, 0xbf3bfb3b
	;; [unrolled: 1-line block ×3, first 2 shown]
	v_mul_f32_e32 v82, 0xbf5ff5aa, v14
	v_fmac_f32_e32 v22, 0xbf955555, v24
	v_fma_f32 v24, v39, s3, -v27
	v_fma_f32 v27, v76, s3, -v36
	;; [unrolled: 1-line block ×3, first 2 shown]
	v_fmac_f32_e32 v17, 0x3d64c772, v20
	v_fma_f32 v20, v76, s4, -v18
	v_fmac_f32_e32 v18, 0x3d64c772, v23
	v_fma_f32 v23, v14, s2, -v77
	v_fma_f32 v39, v15, s2, -v81
	v_fmac_f32_e32 v81, 0xbeae86e6, v21
	v_fma_f32 v21, v21, s5, -v83
	v_fma_f32 v76, v16, s5, -v82
	v_add_f32_e32 v27, v27, v22
	v_add_f32_e32 v36, v36, v84
	v_fmac_f32_e32 v23, 0xbee1c552, v19
	v_fmac_f32_e32 v21, 0xbee1c552, v13
	v_add_f32_e32 v83, v18, v22
	v_add_f32_e32 v22, v20, v22
	v_fmac_f32_e32 v76, 0xbee1c552, v19
	v_add_f32_e32 v15, v21, v36
	v_add_f32_e32 v18, v23, v27
	v_sub_f32_e32 v20, v27, v23
	v_sub_f32_e32 v21, v36, v21
	v_add_f32_e32 v27, v85, v78
	v_add_f32_e32 v36, v32, v26
	v_sub_f32_e32 v26, v32, v26
	v_add_f32_e32 v32, v33, v31
	v_fmac_f32_e32 v77, 0xbeae86e6, v16
	v_sub_f32_e32 v16, v22, v76
	v_add_f32_e32 v22, v76, v22
	v_add_f32_e32 v76, v34, v25
	v_sub_f32_e32 v31, v33, v31
	v_sub_f32_e32 v25, v34, v25
	v_add_f32_e32 v33, v35, v29
	v_add_f32_e32 v34, v28, v30
	v_sub_f32_e32 v28, v30, v28
	v_add_f32_e32 v30, v32, v27
	v_add_f32_e32 v24, v24, v84
	v_fmac_f32_e32 v77, 0xbee1c552, v19
	v_fmac_f32_e32 v39, 0xbee1c552, v13
	v_sub_f32_e32 v29, v29, v35
	v_add_f32_e32 v35, v76, v36
	v_add_f32_e32 v30, v33, v30
	;; [unrolled: 1-line block ×3, first 2 shown]
	v_fmac_f32_e32 v81, 0xbee1c552, v13
	v_sub_f32_e32 v14, v83, v77
	v_sub_f32_e32 v17, v24, v39
	v_add_f32_e32 v19, v39, v24
	v_add_f32_e32 v24, v77, v83
	v_sub_f32_e32 v39, v85, v78
	v_sub_f32_e32 v77, v32, v27
	;; [unrolled: 1-line block ×4, first 2 shown]
	v_add_f32_e32 v33, v34, v35
	v_add_f32_e32 v9, v9, v30
	v_add_f32_e32 v13, v81, v82
	v_sub_f32_e32 v23, v82, v81
	v_sub_f32_e32 v78, v76, v36
	v_sub_f32_e32 v36, v36, v34
	v_sub_f32_e32 v76, v34, v76
	v_add_f32_e32 v81, v29, v31
	v_sub_f32_e32 v83, v29, v31
	v_sub_f32_e32 v31, v31, v39
	v_add_f32_e32 v10, v10, v33
	v_mov_b32_e32 v85, v9
	v_add_f32_e32 v82, v28, v25
	v_sub_f32_e32 v84, v28, v25
	v_sub_f32_e32 v29, v39, v29
	;; [unrolled: 1-line block ×3, first 2 shown]
	v_add_f32_e32 v34, v81, v39
	v_mul_f32_e32 v27, 0x3f4a47b2, v27
	v_mul_f32_e32 v35, 0x3f4a47b2, v36
	;; [unrolled: 1-line block ×6, first 2 shown]
	v_fmac_f32_e32 v85, 0xbf955555, v30
	v_mov_b32_e32 v30, v10
	v_sub_f32_e32 v28, v26, v28
	v_add_f32_e32 v26, v82, v26
	v_mul_f32_e32 v82, 0x3f08b237, v84
	v_mul_f32_e32 v84, 0xbf5ff5aa, v25
	v_fmac_f32_e32 v30, 0xbf955555, v33
	v_fma_f32 v33, v77, s3, -v36
	v_fma_f32 v36, v78, s3, -v39
	v_fma_f32 v39, v77, s4, -v27
	v_fmac_f32_e32 v27, 0x3d64c772, v32
	v_fma_f32 v32, v78, s4, -v35
	v_fmac_f32_e32 v35, 0x3d64c772, v76
	v_fma_f32 v76, v31, s2, -v81
	v_fma_f32 v77, v29, s5, -v83
	v_fmac_f32_e32 v81, 0xbeae86e6, v29
	v_fma_f32 v31, v25, s2, -v82
	v_fma_f32 v78, v28, s5, -v84
	v_add_f32_e32 v84, v35, v30
	v_add_f32_e32 v35, v36, v30
	;; [unrolled: 1-line block ×4, first 2 shown]
	v_fmac_f32_e32 v76, 0xbee1c552, v34
	v_fmac_f32_e32 v77, 0xbee1c552, v34
	v_fmac_f32_e32 v82, 0xbeae86e6, v28
	v_add_f32_e32 v33, v33, v85
	v_fmac_f32_e32 v81, 0xbee1c552, v34
	v_fmac_f32_e32 v31, 0xbee1c552, v26
	;; [unrolled: 1-line block ×3, first 2 shown]
	v_sub_f32_e32 v28, v39, v77
	v_add_f32_e32 v30, v76, v35
	v_sub_f32_e32 v32, v35, v76
	v_add_f32_e32 v34, v77, v39
	v_add_f32_e32 v39, v79, v80
	;; [unrolled: 1-line block ×3, first 2 shown]
	v_sub_f32_e32 v38, v44, v38
	v_add_f32_e32 v44, v45, v43
	v_add_f32_e32 v83, v27, v85
	;; [unrolled: 1-line block ×3, first 2 shown]
	v_sub_f32_e32 v29, v33, v31
	v_add_f32_e32 v31, v31, v33
	v_sub_f32_e32 v33, v36, v78
	v_add_f32_e32 v78, v46, v37
	v_sub_f32_e32 v43, v45, v43
	v_sub_f32_e32 v37, v46, v37
	v_add_f32_e32 v45, v47, v41
	v_add_f32_e32 v46, v40, v42
	v_sub_f32_e32 v40, v42, v40
	v_add_f32_e32 v42, v44, v39
	v_sub_f32_e32 v41, v41, v47
	v_add_f32_e32 v47, v78, v76
	v_add_f32_e32 v42, v45, v42
	v_fmac_f32_e32 v82, 0xbee1c552, v26
	v_sub_f32_e32 v77, v79, v80
	v_sub_f32_e32 v79, v44, v39
	;; [unrolled: 1-line block ×4, first 2 shown]
	v_add_f32_e32 v45, v46, v47
	v_add_f32_e32 v11, v11, v42
	;; [unrolled: 1-line block ×3, first 2 shown]
	v_sub_f32_e32 v26, v84, v81
	v_sub_f32_e32 v35, v83, v82
	v_add_f32_e32 v36, v81, v84
	v_sub_f32_e32 v80, v78, v76
	v_sub_f32_e32 v76, v76, v46
	v_sub_f32_e32 v78, v46, v78
	v_add_f32_e32 v81, v41, v43
	v_add_f32_e32 v82, v40, v37
	v_sub_f32_e32 v83, v41, v43
	v_sub_f32_e32 v84, v40, v37
	v_add_f32_e32 v12, v12, v45
	v_mov_b32_e32 v85, v11
	v_sub_f32_e32 v41, v77, v41
	v_sub_f32_e32 v40, v38, v40
	;; [unrolled: 1-line block ×4, first 2 shown]
	v_add_f32_e32 v46, v81, v77
	v_add_f32_e32 v38, v82, v38
	v_mul_f32_e32 v39, 0x3f4a47b2, v39
	v_mul_f32_e32 v47, 0x3f4a47b2, v76
	;; [unrolled: 1-line block ×6, first 2 shown]
	v_fmac_f32_e32 v85, 0xbf955555, v42
	v_mov_b32_e32 v42, v12
	v_mul_f32_e32 v83, 0xbf5ff5aa, v43
	v_mul_f32_e32 v84, 0xbf5ff5aa, v37
	v_fmac_f32_e32 v42, 0xbf955555, v45
	v_fma_f32 v45, v79, s3, -v76
	v_fma_f32 v76, v80, s3, -v77
	;; [unrolled: 1-line block ×3, first 2 shown]
	v_fmac_f32_e32 v39, 0x3d64c772, v44
	v_fma_f32 v44, v80, s4, -v47
	v_fmac_f32_e32 v47, 0x3d64c772, v78
	v_fma_f32 v78, v43, s2, -v81
	;; [unrolled: 2-line block ×4, first 2 shown]
	v_fma_f32 v80, v40, s5, -v84
	v_add_f32_e32 v83, v39, v85
	v_add_f32_e32 v47, v47, v42
	v_fmac_f32_e32 v81, 0xbee1c552, v46
	v_fmac_f32_e32 v82, 0xbee1c552, v38
	v_add_f32_e32 v45, v45, v85
	v_add_f32_e32 v76, v76, v42
	;; [unrolled: 1-line block ×4, first 2 shown]
	v_fmac_f32_e32 v78, 0xbee1c552, v46
	v_fmac_f32_e32 v43, 0xbee1c552, v38
	;; [unrolled: 1-line block ×4, first 2 shown]
	v_add_f32_e32 v37, v82, v83
	v_sub_f32_e32 v38, v47, v81
	s_waitcnt lgkmcnt(0)
	; wave barrier
	ds_write2_b64 v175, v[7:8], v[13:14] offset1:52
	ds_write2_b64 v175, v[15:16], v[17:18] offset0:104 offset1:156
	ds_write2_b64 v5, v[19:20], v[21:22] offset0:80 offset1:132
	;; [unrolled: 1-line block ×6, first 2 shown]
	v_add_u32_e32 v7, 0x1400, v199
	v_add_f32_e32 v39, v80, v77
	v_sub_f32_e32 v40, v84, v79
	v_sub_f32_e32 v41, v45, v43
	v_add_f32_e32 v42, v78, v76
	v_add_f32_e32 v43, v43, v45
	v_sub_f32_e32 v44, v76, v78
	v_sub_f32_e32 v45, v77, v80
	v_add_f32_e32 v46, v79, v84
	v_sub_f32_e32 v76, v83, v82
	v_add_f32_e32 v77, v81, v47
	ds_write2_b64 v7, v[11:12], v[37:38] offset0:88 offset1:140
	v_add_u32_e32 v7, 0x1800, v199
	ds_write2_b64 v7, v[39:40], v[41:42] offset0:64 offset1:116
	ds_write2_b64 v7, v[43:44], v[45:46] offset0:168 offset1:220
	ds_write_b64 v199, v[76:77] offset:8320
	s_waitcnt lgkmcnt(0)
	; wave barrier
	s_waitcnt lgkmcnt(0)
	ds_read2_b64 v[7:10], v175 offset1:52
	ds_read2_b64 v[11:14], v3 offset0:56 offset1:108
	ds_read2_b64 v[15:18], v4 offset0:88 offset1:140
	;; [unrolled: 1-line block ×9, first 2 shown]
	ds_read_b64 v[76:77], v175 offset:8320
	s_waitcnt lgkmcnt(9)
	v_mul_f32_e32 v47, v49, v14
	v_fmac_f32_e32 v47, v48, v13
	v_mul_f32_e32 v13, v49, v13
	v_fma_f32 v48, v48, v14, -v13
	s_waitcnt lgkmcnt(8)
	v_mul_f32_e32 v13, v51, v15
	v_mul_f32_e32 v49, v51, v16
	v_fma_f32 v16, v50, v16, -v13
	s_waitcnt lgkmcnt(7)
	v_mul_f32_e32 v13, v53, v19
	v_fmac_f32_e32 v49, v50, v15
	v_mul_f32_e32 v50, v53, v20
	v_fma_f32 v20, v52, v20, -v13
	v_mul_f32_e32 v13, v55, v17
	v_fmac_f32_e32 v50, v52, v19
	v_mul_f32_e32 v51, v55, v18
	v_fma_f32 v52, v54, v18, -v13
	v_mul_f32_e32 v13, v57, v21
	v_fmac_f32_e32 v51, v54, v17
	v_fma_f32 v54, v56, v22, -v13
	s_waitcnt lgkmcnt(5)
	v_mul_f32_e32 v13, v59, v27
	v_mul_f32_e32 v53, v57, v22
	v_mul_f32_e32 v55, v59, v28
	v_fma_f32 v28, v58, v28, -v13
	s_waitcnt lgkmcnt(4)
	v_mul_f32_e32 v13, v61, v31
	v_fmac_f32_e32 v53, v56, v21
	v_mul_f32_e32 v56, v61, v32
	v_fma_f32 v32, v60, v32, -v13
	v_mul_f32_e32 v13, v63, v29
	v_fmac_f32_e32 v55, v58, v27
	v_fma_f32 v58, v62, v30, -v13
	v_mul_f32_e32 v13, v65, v33
	v_fmac_f32_e32 v56, v60, v31
	v_fma_f32 v60, v64, v34, -v13
	s_waitcnt lgkmcnt(2)
	v_mul_f32_e32 v13, v67, v39
	v_mul_f32_e32 v57, v63, v30
	;; [unrolled: 1-line block ×3, first 2 shown]
	v_fma_f32 v40, v66, v40, -v13
	s_waitcnt lgkmcnt(1)
	v_mul_f32_e32 v13, v69, v43
	v_fmac_f32_e32 v57, v62, v29
	v_mul_f32_e32 v59, v65, v34
	v_mul_f32_e32 v62, v69, v44
	v_fma_f32 v44, v68, v44, -v13
	v_mul_f32_e32 v13, v71, v41
	v_fmac_f32_e32 v59, v64, v33
	v_fma_f32 v64, v70, v42, -v13
	v_mul_f32_e32 v13, v73, v45
	v_fmac_f32_e32 v61, v66, v39
	v_fma_f32 v66, v72, v46, -v13
	s_waitcnt lgkmcnt(0)
	v_mul_f32_e32 v13, v75, v76
	v_add_f32_e32 v14, v47, v49
	v_fmac_f32_e32 v62, v68, v43
	v_fma_f32 v68, v74, v77, -v13
	v_add_f32_e32 v13, v7, v47
	v_fma_f32 v7, -0.5, v14, v7
	v_sub_f32_e32 v14, v48, v16
	v_mov_b32_e32 v15, v7
	v_fmac_f32_e32 v15, 0xbf5db3d7, v14
	v_fmac_f32_e32 v7, 0x3f5db3d7, v14
	v_add_f32_e32 v14, v8, v48
	v_add_f32_e32 v14, v14, v16
	;; [unrolled: 1-line block ×3, first 2 shown]
	v_fma_f32 v8, -0.5, v16, v8
	v_sub_f32_e32 v17, v47, v49
	v_mov_b32_e32 v16, v8
	v_add_f32_e32 v18, v50, v51
	v_fmac_f32_e32 v16, 0x3f5db3d7, v17
	v_fmac_f32_e32 v8, 0xbf5db3d7, v17
	v_add_f32_e32 v17, v9, v50
	v_fma_f32 v9, -0.5, v18, v9
	v_sub_f32_e32 v18, v20, v52
	v_mov_b32_e32 v19, v9
	v_fmac_f32_e32 v19, 0xbf5db3d7, v18
	v_fmac_f32_e32 v9, 0x3f5db3d7, v18
	v_add_f32_e32 v18, v10, v20
	v_add_f32_e32 v20, v20, v52
	v_fmac_f32_e32 v10, -0.5, v20
	v_sub_f32_e32 v21, v50, v51
	v_mov_b32_e32 v20, v10
	v_add_f32_e32 v22, v53, v55
	v_fmac_f32_e32 v20, 0x3f5db3d7, v21
	v_fmac_f32_e32 v10, 0xbf5db3d7, v21
	v_add_f32_e32 v21, v23, v53
	v_fma_f32 v23, -0.5, v22, v23
	v_sub_f32_e32 v22, v54, v28
	v_mov_b32_e32 v27, v23
	v_fmac_f32_e32 v27, 0xbf5db3d7, v22
	v_fmac_f32_e32 v23, 0x3f5db3d7, v22
	v_add_f32_e32 v22, v24, v54
	v_add_f32_e32 v22, v22, v28
	;; [unrolled: 1-line block ×3, first 2 shown]
	v_fma_f32 v24, -0.5, v28, v24
	v_sub_f32_e32 v29, v53, v55
	v_mov_b32_e32 v28, v24
	v_add_f32_e32 v30, v56, v57
	v_fmac_f32_e32 v28, 0x3f5db3d7, v29
	v_fmac_f32_e32 v24, 0xbf5db3d7, v29
	v_add_f32_e32 v29, v25, v56
	v_fma_f32 v25, -0.5, v30, v25
	v_sub_f32_e32 v30, v32, v58
	v_mov_b32_e32 v31, v25
	v_fmac_f32_e32 v31, 0xbf5db3d7, v30
	v_fmac_f32_e32 v25, 0x3f5db3d7, v30
	v_add_f32_e32 v30, v26, v32
	v_add_f32_e32 v32, v32, v58
	v_fmac_f32_e32 v26, -0.5, v32
	v_sub_f32_e32 v33, v56, v57
	v_mov_b32_e32 v32, v26
	v_add_f32_e32 v34, v59, v61
	v_fmac_f32_e32 v32, 0x3f5db3d7, v33
	v_fmac_f32_e32 v26, 0xbf5db3d7, v33
	v_add_f32_e32 v33, v35, v59
	v_fma_f32 v35, -0.5, v34, v35
	v_sub_f32_e32 v34, v60, v40
	v_mov_b32_e32 v39, v35
	v_fmac_f32_e32 v39, 0xbf5db3d7, v34
	v_fmac_f32_e32 v35, 0x3f5db3d7, v34
	v_add_f32_e32 v34, v36, v60
	v_mul_f32_e32 v63, v71, v42
	v_add_f32_e32 v34, v34, v40
	v_add_f32_e32 v40, v60, v40
	v_fmac_f32_e32 v63, v70, v41
	v_fma_f32 v36, -0.5, v40, v36
	v_sub_f32_e32 v41, v59, v61
	v_mov_b32_e32 v40, v36
	v_add_f32_e32 v42, v62, v63
	v_fmac_f32_e32 v40, 0x3f5db3d7, v41
	v_fmac_f32_e32 v36, 0xbf5db3d7, v41
	v_add_f32_e32 v41, v37, v62
	v_fma_f32 v37, -0.5, v42, v37
	v_sub_f32_e32 v42, v44, v64
	v_mov_b32_e32 v43, v37
	v_mul_f32_e32 v65, v73, v46
	v_mul_f32_e32 v67, v75, v77
	v_fmac_f32_e32 v43, 0xbf5db3d7, v42
	v_fmac_f32_e32 v37, 0x3f5db3d7, v42
	v_add_f32_e32 v42, v38, v44
	v_add_f32_e32 v44, v44, v64
	v_fmac_f32_e32 v65, v72, v45
	v_fmac_f32_e32 v67, v74, v76
	v_fmac_f32_e32 v38, -0.5, v44
	v_sub_f32_e32 v45, v62, v63
	v_mov_b32_e32 v44, v38
	v_add_f32_e32 v46, v65, v67
	v_fmac_f32_e32 v44, 0x3f5db3d7, v45
	v_fmac_f32_e32 v38, 0xbf5db3d7, v45
	v_add_f32_e32 v45, v11, v65
	v_fma_f32 v11, -0.5, v46, v11
	v_sub_f32_e32 v46, v66, v68
	v_mov_b32_e32 v47, v11
	v_add_f32_e32 v48, v66, v68
	v_fmac_f32_e32 v47, 0xbf5db3d7, v46
	v_fmac_f32_e32 v11, 0x3f5db3d7, v46
	v_add_f32_e32 v46, v12, v66
	v_fmac_f32_e32 v12, -0.5, v48
	v_add_f32_e32 v13, v13, v49
	v_sub_f32_e32 v49, v65, v67
	v_mov_b32_e32 v48, v12
	v_add_f32_e32 v17, v17, v51
	v_add_f32_e32 v18, v18, v52
	;; [unrolled: 1-line block ×10, first 2 shown]
	v_fmac_f32_e32 v48, 0x3f5db3d7, v49
	v_fmac_f32_e32 v12, 0xbf5db3d7, v49
	ds_write_b64 v175, v[15:16] offset:2912
	ds_write_b64 v175, v[7:8] offset:5824
	ds_write2_b64 v175, v[13:14], v[17:18] offset1:52
	ds_write2_b64 v3, v[19:20], v[27:28] offset0:160 offset1:212
	ds_write2_b64 v2, v[9:10], v[23:24] offset0:12 offset1:64
	;; [unrolled: 1-line block ×3, first 2 shown]
	ds_write_b64 v175, v[25:26] offset:7072
	ds_write2_b64 v6, v[31:32], v[39:40] offset0:8 offset1:60
	ds_write2_b64 v5, v[33:34], v[41:42] offset0:80 offset1:132
	;; [unrolled: 1-line block ×3, first 2 shown]
	ds_write_b64 v175, v[45:46] offset:2496
	ds_write2_b64 v6, v[43:44], v[47:48] offset0:112 offset1:164
	ds_write_b64 v175, v[11:12] offset:8320
	s_waitcnt lgkmcnt(0)
	; wave barrier
	s_waitcnt lgkmcnt(0)
	ds_read2_b64 v[7:10], v175 offset1:52
	v_mad_u64_u32 v[11:12], s[2:3], s11, v225, v[1:2]
	s_mov_b32 s2, 0x1e01e01e
	s_mov_b32 s3, 0x3f4e01e0
	s_waitcnt lgkmcnt(0)
	v_mul_f32_e32 v1, v168, v8
	v_fmac_f32_e32 v1, v167, v7
	v_cvt_f64_f32_e32 v[12:13], v1
	v_mul_f32_e32 v1, v168, v7
	v_fma_f32 v1, v167, v8, -v1
	v_cvt_f64_f32_e32 v[7:8], v1
	v_mul_f64 v[12:13], v[12:13], s[2:3]
	v_mad_u64_u32 v[15:16], s[4:5], s8, v176, 0
	v_mul_f64 v[7:8], v[7:8], s[2:3]
	v_mov_b32_e32 v1, v11
	v_mov_b32_e32 v11, v16
	v_lshlrev_b64 v[0:1], 3, v[0:1]
	v_mov_b32_e32 v19, s13
	v_mad_u64_u32 v[16:17], s[4:5], s9, v176, v[11:12]
	v_cvt_f32_f64_e32 v17, v[12:13]
	ds_read2_b64 v[11:14], v6 offset0:34 offset1:86
	v_cvt_f32_f64_e32 v18, v[7:8]
	v_add_co_u32_e32 v20, vcc, s12, v0
	v_addc_co_u32_e32 v19, vcc, v19, v1, vcc
	s_waitcnt lgkmcnt(0)
	v_mul_f32_e32 v7, v166, v12
	v_fmac_f32_e32 v7, v165, v11
	v_mul_f32_e32 v11, v166, v11
	v_fma_f32 v11, v165, v12, -v11
	v_cvt_f64_f32_e32 v[7:8], v7
	v_cvt_f64_f32_e32 v[11:12], v11
	s_mul_i32 s4, s9, 0x222
	s_mul_hi_u32 s5, s8, 0x222
	v_mul_f64 v[0:1], v[7:8], s[2:3]
	v_mul_f64 v[7:8], v[11:12], s[2:3]
	v_lshlrev_b64 v[11:12], 3, v[15:16]
	s_add_i32 s5, s5, s4
	v_add_co_u32_e32 v11, vcc, v20, v11
	s_mul_i32 s4, s8, 0x222
	v_addc_co_u32_e32 v12, vcc, v19, v12, vcc
	v_cvt_f32_f64_e32 v0, v[0:1]
	v_cvt_f32_f64_e32 v1, v[7:8]
	v_mul_f32_e32 v7, v164, v10
	v_fmac_f32_e32 v7, v163, v9
	v_mul_f32_e32 v9, v164, v9
	v_fma_f32 v9, v163, v10, -v9
	v_cvt_f64_f32_e32 v[7:8], v7
	v_cvt_f64_f32_e32 v[9:10], v9
	s_lshl_b64 s[4:5], s[4:5], 3
	global_store_dwordx2 v[11:12], v[17:18], off
	v_mul_f64 v[7:8], v[7:8], s[2:3]
	v_mul_f64 v[9:10], v[9:10], s[2:3]
	v_mov_b32_e32 v21, s5
	v_add_co_u32_e32 v11, vcc, s4, v11
	v_addc_co_u32_e32 v12, vcc, v12, v21, vcc
	global_store_dwordx2 v[11:12], v[0:1], off
	v_cvt_f32_f64_e32 v0, v[7:8]
	v_cvt_f32_f64_e32 v1, v[9:10]
	v_mul_f32_e32 v7, v170, v14
	v_mul_f32_e32 v9, v170, v13
	v_fmac_f32_e32 v7, v169, v13
	v_fma_f32 v9, v169, v14, -v9
	v_cvt_f64_f32_e32 v[7:8], v7
	v_cvt_f64_f32_e32 v[9:10], v9
	s_mul_hi_u32 s7, s8, 0xfffffe12
	s_mul_i32 s6, s9, 0xfffffe12
	v_mul_f64 v[13:14], v[7:8], s[2:3]
	v_mul_f64 v[15:16], v[9:10], s[2:3]
	ds_read2_b64 v[7:10], v175 offset0:104 offset1:156
	s_sub_i32 s7, s7, s8
	s_add_i32 s7, s7, s6
	s_mul_i32 s6, s8, 0xfffffe12
	s_lshl_b64 s[6:7], s[6:7], 3
	v_mov_b32_e32 v22, s7
	v_add_co_u32_e32 v17, vcc, s6, v11
	s_waitcnt lgkmcnt(0)
	v_mul_f32_e32 v11, v159, v8
	v_addc_co_u32_e32 v18, vcc, v12, v22, vcc
	v_fmac_f32_e32 v11, v158, v7
	v_mul_f32_e32 v7, v159, v7
	global_store_dwordx2 v[17:18], v[0:1], off
	v_cvt_f32_f64_e32 v0, v[13:14]
	v_cvt_f32_f64_e32 v1, v[15:16]
	v_cvt_f64_f32_e32 v[15:16], v11
	v_fma_f32 v7, v158, v8, -v7
	ds_read2_b64 v[11:14], v6 offset0:138 offset1:190
	v_cvt_f64_f32_e32 v[7:8], v7
	v_mul_f64 v[15:16], v[15:16], s[2:3]
	v_add_co_u32_e32 v17, vcc, s4, v17
	v_mul_f64 v[6:7], v[7:8], s[2:3]
	s_waitcnt lgkmcnt(0)
	v_mul_f32_e32 v8, v161, v12
	v_fmac_f32_e32 v8, v160, v11
	v_cvt_f64_f32_e32 v[19:20], v8
	v_mul_f32_e32 v8, v161, v11
	v_fma_f32 v8, v160, v12, -v8
	v_cvt_f64_f32_e32 v[11:12], v8
	v_addc_co_u32_e32 v18, vcc, v18, v21, vcc
	global_store_dwordx2 v[17:18], v[0:1], off
	v_mul_f64 v[11:12], v[11:12], s[2:3]
	v_cvt_f32_f64_e32 v0, v[15:16]
	v_mul_f64 v[15:16], v[19:20], s[2:3]
	v_cvt_f32_f64_e32 v1, v[6:7]
	v_add_co_u32_e32 v6, vcc, s6, v17
	v_mul_f32_e32 v8, v153, v10
	v_addc_co_u32_e32 v7, vcc, v18, v22, vcc
	v_fmac_f32_e32 v8, v152, v9
	global_store_dwordx2 v[6:7], v[0:1], off
	v_cvt_f32_f64_e32 v1, v[11:12]
	v_cvt_f64_f32_e32 v[11:12], v8
	v_mul_f32_e32 v8, v153, v9
	v_fma_f32 v8, v152, v10, -v8
	v_cvt_f64_f32_e32 v[8:9], v8
	v_cvt_f32_f64_e32 v0, v[15:16]
	v_add_co_u32_e32 v15, vcc, s4, v6
	v_addc_co_u32_e32 v16, vcc, v7, v21, vcc
	v_mul_f64 v[6:7], v[8:9], s[2:3]
	v_mul_f32_e32 v8, v149, v14
	v_mul_f32_e32 v10, v149, v13
	global_store_dwordx2 v[15:16], v[0:1], off
	v_mul_f64 v[0:1], v[11:12], s[2:3]
	v_fmac_f32_e32 v8, v148, v13
	v_fma_f32 v10, v148, v14, -v10
	v_cvt_f64_f32_e32 v[8:9], v8
	v_cvt_f64_f32_e32 v[10:11], v10
	v_add_co_u32_e32 v14, vcc, s6, v15
	v_mul_f64 v[12:13], v[8:9], s[2:3]
	v_mul_f64 v[9:10], v[10:11], s[2:3]
	v_cvt_f32_f64_e32 v0, v[0:1]
	v_cvt_f32_f64_e32 v1, v[6:7]
	ds_read2_b64 v[5:8], v5 offset0:80 offset1:132
	v_addc_co_u32_e32 v15, vcc, v16, v22, vcc
	global_store_dwordx2 v[14:15], v[0:1], off
	v_cvt_f32_f64_e32 v0, v[12:13]
	v_cvt_f32_f64_e32 v1, v[9:10]
	s_waitcnt lgkmcnt(0)
	v_mul_f32_e32 v9, v155, v6
	v_fmac_f32_e32 v9, v154, v5
	v_mul_f32_e32 v5, v155, v5
	v_cvt_f64_f32_e32 v[16:17], v9
	v_fma_f32 v5, v154, v6, -v5
	ds_read2_b64 v[9:12], v4 offset0:114 offset1:166
	v_cvt_f64_f32_e32 v[5:6], v5
	v_add_co_u32_e32 v13, vcc, s4, v14
	v_addc_co_u32_e32 v14, vcc, v15, v21, vcc
	v_mul_f64 v[4:5], v[5:6], s[2:3]
	s_waitcnt lgkmcnt(0)
	v_mul_f32_e32 v6, v147, v10
	v_fmac_f32_e32 v6, v146, v9
	v_mul_f64 v[15:16], v[16:17], s[2:3]
	v_cvt_f64_f32_e32 v[17:18], v6
	v_mul_f32_e32 v6, v147, v9
	v_fma_f32 v6, v146, v10, -v6
	v_cvt_f64_f32_e32 v[9:10], v6
	global_store_dwordx2 v[13:14], v[0:1], off
	v_cvt_f32_f64_e32 v1, v[4:5]
	v_add_co_u32_e32 v4, vcc, s6, v13
	v_mul_f64 v[9:10], v[9:10], s[2:3]
	v_cvt_f32_f64_e32 v0, v[15:16]
	v_mul_f64 v[15:16], v[17:18], s[2:3]
	v_mul_f32_e32 v6, v157, v8
	v_addc_co_u32_e32 v5, vcc, v14, v22, vcc
	v_fmac_f32_e32 v6, v156, v7
	global_store_dwordx2 v[4:5], v[0:1], off
	v_cvt_f32_f64_e32 v1, v[9:10]
	v_cvt_f64_f32_e32 v[9:10], v6
	v_mul_f32_e32 v6, v157, v7
	v_fma_f32 v6, v156, v8, -v6
	v_cvt_f32_f64_e32 v0, v[15:16]
	v_cvt_f64_f32_e32 v[6:7], v6
	v_add_co_u32_e32 v13, vcc, s4, v4
	v_addc_co_u32_e32 v14, vcc, v5, v21, vcc
	v_mul_f32_e32 v8, v151, v11
	global_store_dwordx2 v[13:14], v[0:1], off
	v_mul_f64 v[0:1], v[9:10], s[2:3]
	v_mul_f64 v[4:5], v[6:7], s[2:3]
	v_fma_f32 v8, v150, v12, -v8
	v_mul_f32_e32 v6, v151, v12
	v_cvt_f64_f32_e32 v[8:9], v8
	v_fmac_f32_e32 v6, v150, v11
	v_cvt_f64_f32_e32 v[6:7], v6
	v_add_co_u32_e32 v12, vcc, s6, v13
	v_mul_f64 v[8:9], v[8:9], s[2:3]
	v_mul_f64 v[10:11], v[6:7], s[2:3]
	v_cvt_f32_f64_e32 v0, v[0:1]
	v_cvt_f32_f64_e32 v1, v[4:5]
	ds_read2_b64 v[4:7], v3 offset0:56 offset1:108
	v_addc_co_u32_e32 v13, vcc, v14, v22, vcc
	global_store_dwordx2 v[12:13], v[0:1], off
	v_cvt_f32_f64_e32 v1, v[8:9]
	s_waitcnt lgkmcnt(0)
	v_mul_f32_e32 v8, v145, v5
	v_fmac_f32_e32 v8, v144, v4
	v_cvt_f32_f64_e32 v0, v[10:11]
	v_cvt_f64_f32_e32 v[14:15], v8
	ds_read2_b64 v[8:11], v2 offset0:90 offset1:142
	v_mul_f32_e32 v4, v145, v4
	v_fma_f32 v4, v144, v5, -v4
	v_cvt_f64_f32_e32 v[4:5], v4
	v_mul_f64 v[14:15], v[14:15], s[2:3]
	s_waitcnt lgkmcnt(0)
	v_mul_f32_e32 v16, v143, v9
	v_fmac_f32_e32 v16, v142, v8
	v_mul_f32_e32 v8, v143, v8
	v_fma_f32 v8, v142, v9, -v8
	v_mul_f64 v[4:5], v[4:5], s[2:3]
	v_cvt_f64_f32_e32 v[8:9], v8
	v_cvt_f64_f32_e32 v[16:17], v16
	v_add_co_u32_e32 v12, vcc, s4, v12
	v_mul_f64 v[8:9], v[8:9], s[2:3]
	v_addc_co_u32_e32 v13, vcc, v13, v21, vcc
	global_store_dwordx2 v[12:13], v[0:1], off
	v_cvt_f32_f64_e32 v0, v[14:15]
	v_mul_f64 v[14:15], v[16:17], s[2:3]
	v_cvt_f32_f64_e32 v1, v[4:5]
	v_add_co_u32_e32 v4, vcc, s6, v12
	v_addc_co_u32_e32 v5, vcc, v13, v22, vcc
	global_store_dwordx2 v[4:5], v[0:1], off
	v_cvt_f32_f64_e32 v1, v[8:9]
	v_mul_f32_e32 v8, v141, v7
	v_fmac_f32_e32 v8, v140, v6
	v_mul_f32_e32 v6, v141, v6
	v_fma_f32 v6, v140, v7, -v6
	v_cvt_f32_f64_e32 v0, v[14:15]
	v_cvt_f64_f32_e32 v[8:9], v8
	v_cvt_f64_f32_e32 v[6:7], v6
	v_add_co_u32_e32 v12, vcc, s4, v4
	v_addc_co_u32_e32 v13, vcc, v5, v21, vcc
	global_store_dwordx2 v[12:13], v[0:1], off
	v_mul_f64 v[0:1], v[8:9], s[2:3]
	v_mul_f64 v[4:5], v[6:7], s[2:3]
	v_mul_f32_e32 v6, v139, v11
	v_mul_f32_e32 v8, v139, v10
	v_fmac_f32_e32 v6, v138, v10
	v_fma_f32 v8, v138, v11, -v8
	v_cvt_f64_f32_e32 v[6:7], v6
	v_cvt_f64_f32_e32 v[8:9], v8
	v_cvt_f32_f64_e32 v0, v[0:1]
	v_cvt_f32_f64_e32 v1, v[4:5]
	v_mul_f64 v[10:11], v[6:7], s[2:3]
	v_mul_f64 v[7:8], v[8:9], s[2:3]
	ds_read2_b64 v[3:6], v3 offset0:160 offset1:212
	v_add_co_u32_e32 v12, vcc, s6, v12
	v_addc_co_u32_e32 v13, vcc, v13, v22, vcc
	global_store_dwordx2 v[12:13], v[0:1], off
	s_waitcnt lgkmcnt(0)
	v_mul_f32_e32 v0, v137, v4
	v_fmac_f32_e32 v0, v136, v3
	v_cvt_f32_f64_e32 v9, v[10:11]
	v_cvt_f32_f64_e32 v10, v[7:8]
	v_cvt_f64_f32_e32 v[7:8], v0
	v_mul_f32_e32 v0, v137, v3
	v_fma_f32 v0, v136, v4, -v0
	v_cvt_f64_f32_e32 v[14:15], v0
	ds_read2_b64 v[0:3], v2 offset0:194 offset1:246
	v_add_co_u32_e32 v11, vcc, s4, v12
	v_addc_co_u32_e32 v12, vcc, v13, v21, vcc
	s_waitcnt lgkmcnt(0)
	v_mul_f32_e32 v4, v135, v1
	v_fmac_f32_e32 v4, v134, v0
	v_mul_f32_e32 v0, v135, v0
	v_fma_f32 v0, v134, v1, -v0
	v_mul_f64 v[7:8], v[7:8], s[2:3]
	v_mul_f64 v[13:14], v[14:15], s[2:3]
	v_cvt_f64_f32_e32 v[0:1], v0
	v_cvt_f64_f32_e32 v[15:16], v4
	global_store_dwordx2 v[11:12], v[9:10], off
	v_add_co_u32_e32 v11, vcc, s6, v11
	v_mul_f64 v[0:1], v[0:1], s[2:3]
	v_mul_f64 v[9:10], v[15:16], s[2:3]
	v_cvt_f32_f64_e32 v7, v[7:8]
	v_cvt_f32_f64_e32 v8, v[13:14]
	v_addc_co_u32_e32 v12, vcc, v12, v22, vcc
	v_mul_f32_e32 v4, v133, v5
	global_store_dwordx2 v[11:12], v[7:8], off
	v_cvt_f32_f64_e32 v8, v[0:1]
	v_mul_f32_e32 v0, v133, v6
	v_fmac_f32_e32 v0, v132, v5
	v_fma_f32 v4, v132, v6, -v4
	v_mul_f32_e32 v6, v131, v3
	v_cvt_f64_f32_e32 v[0:1], v0
	v_cvt_f64_f32_e32 v[4:5], v4
	v_fmac_f32_e32 v6, v130, v2
	v_mul_f32_e32 v2, v131, v2
	v_cvt_f32_f64_e32 v7, v[9:10]
	v_add_co_u32_e32 v9, vcc, s4, v11
	v_fma_f32 v2, v130, v3, -v2
	v_addc_co_u32_e32 v10, vcc, v12, v21, vcc
	v_cvt_f64_f32_e32 v[11:12], v6
	v_cvt_f64_f32_e32 v[2:3], v2
	v_mul_f64 v[0:1], v[0:1], s[2:3]
	v_mul_f64 v[4:5], v[4:5], s[2:3]
	global_store_dwordx2 v[9:10], v[7:8], off
	v_mul_f64 v[6:7], v[11:12], s[2:3]
	v_mul_f64 v[2:3], v[2:3], s[2:3]
	v_cvt_f32_f64_e32 v0, v[0:1]
	v_cvt_f32_f64_e32 v1, v[4:5]
	v_add_co_u32_e32 v4, vcc, s6, v9
	v_cvt_f32_f64_e32 v6, v[6:7]
	v_cvt_f32_f64_e32 v7, v[2:3]
	v_addc_co_u32_e32 v5, vcc, v10, v22, vcc
	global_store_dwordx2 v[4:5], v[0:1], off
	v_add_co_u32_e32 v0, vcc, s4, v4
	v_addc_co_u32_e32 v1, vcc, v5, v21, vcc
	global_store_dwordx2 v[0:1], v[6:7], off
	s_and_b64 exec, exec, s[0:1]
	s_cbranch_execz .LBB0_31
; %bb.30:
	v_add_co_u32_e32 v2, vcc, 0x1000, v173
	v_addc_co_u32_e32 v3, vcc, 0, v224, vcc
	global_load_dwordx2 v[2:3], v[2:3], off offset:64
	ds_read_b64 v[4:5], v175 offset:4160
	ds_read_b64 v[6:7], v175 offset:8528
	v_add_co_u32_e32 v0, vcc, s6, v0
	s_movk_i32 s0, 0x2000
	s_waitcnt vmcnt(0) lgkmcnt(1)
	v_mul_f32_e32 v8, v5, v3
	v_mul_f32_e32 v3, v4, v3
	v_fmac_f32_e32 v8, v4, v2
	v_fma_f32 v4, v2, v5, -v3
	v_cvt_f64_f32_e32 v[2:3], v8
	v_cvt_f64_f32_e32 v[4:5], v4
	v_mov_b32_e32 v8, s7
	v_addc_co_u32_e32 v1, vcc, v1, v8, vcc
	v_mul_f64 v[2:3], v[2:3], s[2:3]
	v_mul_f64 v[4:5], v[4:5], s[2:3]
	v_cvt_f32_f64_e32 v2, v[2:3]
	v_cvt_f32_f64_e32 v3, v[4:5]
	v_add_co_u32_e32 v4, vcc, s0, v173
	v_addc_co_u32_e32 v5, vcc, 0, v224, vcc
	global_store_dwordx2 v[0:1], v[2:3], off
	global_load_dwordx2 v[2:3], v[4:5], off offset:336
	v_add_co_u32_e32 v0, vcc, s4, v0
	s_waitcnt vmcnt(0) lgkmcnt(0)
	v_mul_f32_e32 v4, v7, v3
	v_mul_f32_e32 v3, v6, v3
	v_fmac_f32_e32 v4, v6, v2
	v_fma_f32 v5, v2, v7, -v3
	v_cvt_f64_f32_e32 v[2:3], v4
	v_cvt_f64_f32_e32 v[4:5], v5
	v_mov_b32_e32 v6, s5
	v_addc_co_u32_e32 v1, vcc, v1, v6, vcc
	v_mul_f64 v[2:3], v[2:3], s[2:3]
	v_mul_f64 v[4:5], v[4:5], s[2:3]
	v_cvt_f32_f64_e32 v2, v[2:3]
	v_cvt_f32_f64_e32 v3, v[4:5]
	global_store_dwordx2 v[0:1], v[2:3], off
.LBB0_31:
	s_endpgm
	.section	.rodata,"a",@progbits
	.p2align	6, 0x0
	.amdhsa_kernel bluestein_single_back_len1092_dim1_sp_op_CI_CI
		.amdhsa_group_segment_fixed_size 8736
		.amdhsa_private_segment_fixed_size 116
		.amdhsa_kernarg_size 104
		.amdhsa_user_sgpr_count 6
		.amdhsa_user_sgpr_private_segment_buffer 1
		.amdhsa_user_sgpr_dispatch_ptr 0
		.amdhsa_user_sgpr_queue_ptr 0
		.amdhsa_user_sgpr_kernarg_segment_ptr 1
		.amdhsa_user_sgpr_dispatch_id 0
		.amdhsa_user_sgpr_flat_scratch_init 0
		.amdhsa_user_sgpr_private_segment_size 0
		.amdhsa_uses_dynamic_stack 0
		.amdhsa_system_sgpr_private_segment_wavefront_offset 1
		.amdhsa_system_sgpr_workgroup_id_x 1
		.amdhsa_system_sgpr_workgroup_id_y 0
		.amdhsa_system_sgpr_workgroup_id_z 0
		.amdhsa_system_sgpr_workgroup_info 0
		.amdhsa_system_vgpr_workitem_id 0
		.amdhsa_next_free_vgpr 256
		.amdhsa_next_free_sgpr 28
		.amdhsa_reserve_vcc 1
		.amdhsa_reserve_flat_scratch 0
		.amdhsa_float_round_mode_32 0
		.amdhsa_float_round_mode_16_64 0
		.amdhsa_float_denorm_mode_32 3
		.amdhsa_float_denorm_mode_16_64 3
		.amdhsa_dx10_clamp 1
		.amdhsa_ieee_mode 1
		.amdhsa_fp16_overflow 0
		.amdhsa_exception_fp_ieee_invalid_op 0
		.amdhsa_exception_fp_denorm_src 0
		.amdhsa_exception_fp_ieee_div_zero 0
		.amdhsa_exception_fp_ieee_overflow 0
		.amdhsa_exception_fp_ieee_underflow 0
		.amdhsa_exception_fp_ieee_inexact 0
		.amdhsa_exception_int_div_zero 0
	.end_amdhsa_kernel
	.text
.Lfunc_end0:
	.size	bluestein_single_back_len1092_dim1_sp_op_CI_CI, .Lfunc_end0-bluestein_single_back_len1092_dim1_sp_op_CI_CI
                                        ; -- End function
	.section	.AMDGPU.csdata,"",@progbits
; Kernel info:
; codeLenInByte = 27172
; NumSgprs: 32
; NumVgprs: 256
; ScratchSize: 116
; MemoryBound: 0
; FloatMode: 240
; IeeeMode: 1
; LDSByteSize: 8736 bytes/workgroup (compile time only)
; SGPRBlocks: 3
; VGPRBlocks: 63
; NumSGPRsForWavesPerEU: 32
; NumVGPRsForWavesPerEU: 256
; Occupancy: 1
; WaveLimiterHint : 1
; COMPUTE_PGM_RSRC2:SCRATCH_EN: 1
; COMPUTE_PGM_RSRC2:USER_SGPR: 6
; COMPUTE_PGM_RSRC2:TRAP_HANDLER: 0
; COMPUTE_PGM_RSRC2:TGID_X_EN: 1
; COMPUTE_PGM_RSRC2:TGID_Y_EN: 0
; COMPUTE_PGM_RSRC2:TGID_Z_EN: 0
; COMPUTE_PGM_RSRC2:TIDIG_COMP_CNT: 0
	.type	__hip_cuid_b21db8adc146f911,@object ; @__hip_cuid_b21db8adc146f911
	.section	.bss,"aw",@nobits
	.globl	__hip_cuid_b21db8adc146f911
__hip_cuid_b21db8adc146f911:
	.byte	0                               ; 0x0
	.size	__hip_cuid_b21db8adc146f911, 1

	.ident	"AMD clang version 19.0.0git (https://github.com/RadeonOpenCompute/llvm-project roc-6.4.0 25133 c7fe45cf4b819c5991fe208aaa96edf142730f1d)"
	.section	".note.GNU-stack","",@progbits
	.addrsig
	.addrsig_sym __hip_cuid_b21db8adc146f911
	.amdgpu_metadata
---
amdhsa.kernels:
  - .args:
      - .actual_access:  read_only
        .address_space:  global
        .offset:         0
        .size:           8
        .value_kind:     global_buffer
      - .actual_access:  read_only
        .address_space:  global
        .offset:         8
        .size:           8
        .value_kind:     global_buffer
      - .actual_access:  read_only
        .address_space:  global
        .offset:         16
        .size:           8
        .value_kind:     global_buffer
      - .actual_access:  read_only
        .address_space:  global
        .offset:         24
        .size:           8
        .value_kind:     global_buffer
      - .actual_access:  read_only
        .address_space:  global
        .offset:         32
        .size:           8
        .value_kind:     global_buffer
      - .offset:         40
        .size:           8
        .value_kind:     by_value
      - .address_space:  global
        .offset:         48
        .size:           8
        .value_kind:     global_buffer
      - .address_space:  global
        .offset:         56
        .size:           8
        .value_kind:     global_buffer
      - .address_space:  global
        .offset:         64
        .size:           8
        .value_kind:     global_buffer
      - .address_space:  global
        .offset:         72
        .size:           8
        .value_kind:     global_buffer
      - .offset:         80
        .size:           4
        .value_kind:     by_value
      - .address_space:  global
        .offset:         88
        .size:           8
        .value_kind:     global_buffer
      - .address_space:  global
        .offset:         96
        .size:           8
        .value_kind:     global_buffer
    .group_segment_fixed_size: 8736
    .kernarg_segment_align: 8
    .kernarg_segment_size: 104
    .language:       OpenCL C
    .language_version:
      - 2
      - 0
    .max_flat_workgroup_size: 52
    .name:           bluestein_single_back_len1092_dim1_sp_op_CI_CI
    .private_segment_fixed_size: 116
    .sgpr_count:     32
    .sgpr_spill_count: 0
    .symbol:         bluestein_single_back_len1092_dim1_sp_op_CI_CI.kd
    .uniform_work_group_size: 1
    .uses_dynamic_stack: false
    .vgpr_count:     256
    .vgpr_spill_count: 28
    .wavefront_size: 64
amdhsa.target:   amdgcn-amd-amdhsa--gfx906
amdhsa.version:
  - 1
  - 2
...

	.end_amdgpu_metadata
